;; amdgpu-corpus repo=ROCm/rocFFT kind=compiled arch=gfx906 opt=O3
	.text
	.amdgcn_target "amdgcn-amd-amdhsa--gfx906"
	.amdhsa_code_object_version 6
	.protected	fft_rtc_back_len2401_factors_7_7_7_7_wgs_49_tpt_49_halfLds_sp_op_CI_CI_sbrr_dirReg ; -- Begin function fft_rtc_back_len2401_factors_7_7_7_7_wgs_49_tpt_49_halfLds_sp_op_CI_CI_sbrr_dirReg
	.globl	fft_rtc_back_len2401_factors_7_7_7_7_wgs_49_tpt_49_halfLds_sp_op_CI_CI_sbrr_dirReg
	.p2align	8
	.type	fft_rtc_back_len2401_factors_7_7_7_7_wgs_49_tpt_49_halfLds_sp_op_CI_CI_sbrr_dirReg,@function
fft_rtc_back_len2401_factors_7_7_7_7_wgs_49_tpt_49_halfLds_sp_op_CI_CI_sbrr_dirReg: ; @fft_rtc_back_len2401_factors_7_7_7_7_wgs_49_tpt_49_halfLds_sp_op_CI_CI_sbrr_dirReg
; %bb.0:
	s_load_dwordx4 s[16:19], s[4:5], 0x18
	s_load_dwordx4 s[12:15], s[4:5], 0x0
	;; [unrolled: 1-line block ×3, first 2 shown]
	v_mul_u32_u24_e32 v1, 0x53a, v0
	v_add_u32_sdwa v3, s6, v1 dst_sel:DWORD dst_unused:UNUSED_PAD src0_sel:DWORD src1_sel:WORD_1
	s_waitcnt lgkmcnt(0)
	s_load_dwordx2 s[20:21], s[16:17], 0x0
	s_load_dwordx2 s[2:3], s[18:19], 0x0
	v_cmp_lt_u64_e64 s[0:1], s[14:15], 2
	v_mov_b32_e32 v1, 0
	v_mov_b32_e32 v104, 0
	;; [unrolled: 1-line block ×3, first 2 shown]
	s_and_b64 vcc, exec, s[0:1]
	v_mov_b32_e32 v105, 0
	s_cbranch_vccnz .LBB0_8
; %bb.1:
	s_load_dwordx2 s[0:1], s[4:5], 0x10
	s_add_u32 s6, s18, 8
	s_addc_u32 s7, s19, 0
	s_add_u32 s22, s16, 8
	s_addc_u32 s23, s17, 0
	v_mov_b32_e32 v104, 0
	s_waitcnt lgkmcnt(0)
	s_add_u32 s24, s0, 8
	v_mov_b32_e32 v105, 0
	v_mov_b32_e32 v16, v104
	s_addc_u32 s25, s1, 0
	s_mov_b64 s[26:27], 1
	v_mov_b32_e32 v17, v105
.LBB0_2:                                ; =>This Inner Loop Header: Depth=1
	s_load_dwordx2 s[28:29], s[24:25], 0x0
                                        ; implicit-def: $vgpr12_vgpr13
	s_waitcnt lgkmcnt(0)
	v_or_b32_e32 v2, s29, v4
	v_cmp_ne_u64_e32 vcc, 0, v[1:2]
	s_and_saveexec_b64 s[0:1], vcc
	s_xor_b64 s[30:31], exec, s[0:1]
	s_cbranch_execz .LBB0_4
; %bb.3:                                ;   in Loop: Header=BB0_2 Depth=1
	v_cvt_f32_u32_e32 v2, s28
	v_cvt_f32_u32_e32 v5, s29
	s_sub_u32 s0, 0, s28
	s_subb_u32 s1, 0, s29
	v_mac_f32_e32 v2, 0x4f800000, v5
	v_rcp_f32_e32 v2, v2
	v_mul_f32_e32 v2, 0x5f7ffffc, v2
	v_mul_f32_e32 v5, 0x2f800000, v2
	v_trunc_f32_e32 v5, v5
	v_mac_f32_e32 v2, 0xcf800000, v5
	v_cvt_u32_f32_e32 v5, v5
	v_cvt_u32_f32_e32 v2, v2
	v_mul_lo_u32 v6, s0, v5
	v_mul_hi_u32 v7, s0, v2
	v_mul_lo_u32 v9, s1, v2
	v_mul_lo_u32 v8, s0, v2
	v_add_u32_e32 v6, v7, v6
	v_add_u32_e32 v6, v6, v9
	v_mul_hi_u32 v7, v2, v8
	v_mul_lo_u32 v9, v2, v6
	v_mul_hi_u32 v11, v2, v6
	v_mul_hi_u32 v10, v5, v8
	v_mul_lo_u32 v8, v5, v8
	v_mul_hi_u32 v12, v5, v6
	v_add_co_u32_e32 v7, vcc, v7, v9
	v_addc_co_u32_e32 v9, vcc, 0, v11, vcc
	v_mul_lo_u32 v6, v5, v6
	v_add_co_u32_e32 v7, vcc, v7, v8
	v_addc_co_u32_e32 v7, vcc, v9, v10, vcc
	v_addc_co_u32_e32 v8, vcc, 0, v12, vcc
	v_add_co_u32_e32 v6, vcc, v7, v6
	v_addc_co_u32_e32 v7, vcc, 0, v8, vcc
	v_add_co_u32_e32 v2, vcc, v2, v6
	v_addc_co_u32_e32 v5, vcc, v5, v7, vcc
	v_mul_lo_u32 v6, s0, v5
	v_mul_hi_u32 v7, s0, v2
	v_mul_lo_u32 v8, s1, v2
	v_mul_lo_u32 v9, s0, v2
	v_add_u32_e32 v6, v7, v6
	v_add_u32_e32 v6, v6, v8
	v_mul_lo_u32 v10, v2, v6
	v_mul_hi_u32 v11, v2, v9
	v_mul_hi_u32 v12, v2, v6
	;; [unrolled: 1-line block ×3, first 2 shown]
	v_mul_lo_u32 v9, v5, v9
	v_mul_hi_u32 v7, v5, v6
	v_add_co_u32_e32 v10, vcc, v11, v10
	v_addc_co_u32_e32 v11, vcc, 0, v12, vcc
	v_mul_lo_u32 v6, v5, v6
	v_add_co_u32_e32 v9, vcc, v10, v9
	v_addc_co_u32_e32 v8, vcc, v11, v8, vcc
	v_addc_co_u32_e32 v7, vcc, 0, v7, vcc
	v_add_co_u32_e32 v6, vcc, v8, v6
	v_addc_co_u32_e32 v7, vcc, 0, v7, vcc
	v_add_co_u32_e32 v2, vcc, v2, v6
	v_addc_co_u32_e32 v7, vcc, v5, v7, vcc
	v_mad_u64_u32 v[5:6], s[0:1], v3, v7, 0
	v_mul_hi_u32 v8, v3, v2
	v_add_co_u32_e32 v9, vcc, v8, v5
	v_addc_co_u32_e32 v10, vcc, 0, v6, vcc
	v_mad_u64_u32 v[5:6], s[0:1], v4, v2, 0
	v_mad_u64_u32 v[7:8], s[0:1], v4, v7, 0
	v_add_co_u32_e32 v2, vcc, v9, v5
	v_addc_co_u32_e32 v2, vcc, v10, v6, vcc
	v_addc_co_u32_e32 v5, vcc, 0, v8, vcc
	v_add_co_u32_e32 v2, vcc, v2, v7
	v_addc_co_u32_e32 v7, vcc, 0, v5, vcc
	v_mul_lo_u32 v8, s29, v2
	v_mul_lo_u32 v9, s28, v7
	v_mad_u64_u32 v[5:6], s[0:1], s28, v2, 0
	v_add3_u32 v6, v6, v9, v8
	v_sub_u32_e32 v8, v4, v6
	v_mov_b32_e32 v9, s29
	v_sub_co_u32_e32 v5, vcc, v3, v5
	v_subb_co_u32_e64 v8, s[0:1], v8, v9, vcc
	v_subrev_co_u32_e64 v9, s[0:1], s28, v5
	v_subbrev_co_u32_e64 v8, s[0:1], 0, v8, s[0:1]
	v_cmp_le_u32_e64 s[0:1], s29, v8
	v_cndmask_b32_e64 v10, 0, -1, s[0:1]
	v_cmp_le_u32_e64 s[0:1], s28, v9
	v_cndmask_b32_e64 v9, 0, -1, s[0:1]
	v_cmp_eq_u32_e64 s[0:1], s29, v8
	v_cndmask_b32_e64 v8, v10, v9, s[0:1]
	v_add_co_u32_e64 v9, s[0:1], 2, v2
	v_addc_co_u32_e64 v10, s[0:1], 0, v7, s[0:1]
	v_add_co_u32_e64 v11, s[0:1], 1, v2
	v_addc_co_u32_e64 v12, s[0:1], 0, v7, s[0:1]
	v_subb_co_u32_e32 v6, vcc, v4, v6, vcc
	v_cmp_ne_u32_e64 s[0:1], 0, v8
	v_cmp_le_u32_e32 vcc, s29, v6
	v_cndmask_b32_e64 v8, v12, v10, s[0:1]
	v_cndmask_b32_e64 v10, 0, -1, vcc
	v_cmp_le_u32_e32 vcc, s28, v5
	v_cndmask_b32_e64 v5, 0, -1, vcc
	v_cmp_eq_u32_e32 vcc, s29, v6
	v_cndmask_b32_e32 v5, v10, v5, vcc
	v_cmp_ne_u32_e32 vcc, 0, v5
	v_cndmask_b32_e64 v5, v11, v9, s[0:1]
	v_cndmask_b32_e32 v13, v7, v8, vcc
	v_cndmask_b32_e32 v12, v2, v5, vcc
.LBB0_4:                                ;   in Loop: Header=BB0_2 Depth=1
	s_andn2_saveexec_b64 s[0:1], s[30:31]
	s_cbranch_execz .LBB0_6
; %bb.5:                                ;   in Loop: Header=BB0_2 Depth=1
	v_cvt_f32_u32_e32 v2, s28
	s_sub_i32 s30, 0, s28
	v_mov_b32_e32 v13, v1
	v_rcp_iflag_f32_e32 v2, v2
	v_mul_f32_e32 v2, 0x4f7ffffe, v2
	v_cvt_u32_f32_e32 v2, v2
	v_mul_lo_u32 v5, s30, v2
	v_mul_hi_u32 v5, v2, v5
	v_add_u32_e32 v2, v2, v5
	v_mul_hi_u32 v2, v3, v2
	v_mul_lo_u32 v5, v2, s28
	v_add_u32_e32 v6, 1, v2
	v_sub_u32_e32 v5, v3, v5
	v_subrev_u32_e32 v7, s28, v5
	v_cmp_le_u32_e32 vcc, s28, v5
	v_cndmask_b32_e32 v5, v5, v7, vcc
	v_cndmask_b32_e32 v2, v2, v6, vcc
	v_add_u32_e32 v6, 1, v2
	v_cmp_le_u32_e32 vcc, s28, v5
	v_cndmask_b32_e32 v12, v2, v6, vcc
.LBB0_6:                                ;   in Loop: Header=BB0_2 Depth=1
	s_or_b64 exec, exec, s[0:1]
	v_mul_lo_u32 v2, v13, s28
	v_mul_lo_u32 v7, v12, s29
	v_mad_u64_u32 v[5:6], s[0:1], v12, s28, 0
	s_load_dwordx2 s[0:1], s[22:23], 0x0
	s_load_dwordx2 s[28:29], s[6:7], 0x0
	v_add3_u32 v2, v6, v7, v2
	v_sub_co_u32_e32 v3, vcc, v3, v5
	v_subb_co_u32_e32 v2, vcc, v4, v2, vcc
	s_waitcnt lgkmcnt(0)
	v_mul_lo_u32 v4, s0, v2
	v_mul_lo_u32 v5, s1, v3
	v_mad_u64_u32 v[104:105], s[0:1], s0, v3, v[104:105]
	v_mul_lo_u32 v2, s28, v2
	v_mul_lo_u32 v6, s29, v3
	v_mad_u64_u32 v[16:17], s[0:1], s28, v3, v[16:17]
	s_add_u32 s26, s26, 1
	s_addc_u32 s27, s27, 0
	s_add_u32 s6, s6, 8
	v_add3_u32 v17, v6, v17, v2
	s_addc_u32 s7, s7, 0
	v_mov_b32_e32 v2, s14
	s_add_u32 s22, s22, 8
	v_mov_b32_e32 v3, s15
	s_addc_u32 s23, s23, 0
	v_cmp_ge_u64_e32 vcc, s[26:27], v[2:3]
	s_add_u32 s24, s24, 8
	v_add3_u32 v105, v5, v105, v4
	s_addc_u32 s25, s25, 0
	s_cbranch_vccnz .LBB0_9
; %bb.7:                                ;   in Loop: Header=BB0_2 Depth=1
	v_mov_b32_e32 v3, v12
	v_mov_b32_e32 v4, v13
	s_branch .LBB0_2
.LBB0_8:
	v_mov_b32_e32 v16, v104
	v_mov_b32_e32 v13, v4
	;; [unrolled: 1-line block ×4, first 2 shown]
.LBB0_9:
	s_load_dwordx2 s[0:1], s[4:5], 0x28
	s_lshl_b64 s[14:15], s[14:15], 3
	s_add_u32 s4, s18, s14
	s_addc_u32 s5, s19, s15
                                        ; implicit-def: $sgpr18_sgpr19
                                        ; implicit-def: $vgpr106
                                        ; implicit-def: $vgpr107
                                        ; implicit-def: $vgpr108
                                        ; implicit-def: $vgpr109
                                        ; implicit-def: $vgpr110
                                        ; implicit-def: $vgpr111
                                        ; implicit-def: $vgpr112
	s_waitcnt lgkmcnt(0)
	v_cmp_gt_u64_e32 vcc, s[0:1], v[12:13]
	v_cmp_le_u64_e64 s[0:1], s[0:1], v[12:13]
	s_and_saveexec_b64 s[6:7], s[0:1]
	s_xor_b64 s[0:1], exec, s[6:7]
; %bb.10:
	s_mov_b32 s6, 0x539782a
	v_mul_hi_u32 v1, v0, s6
	s_mov_b64 s[18:19], 0
                                        ; implicit-def: $vgpr104_vgpr105
	v_mul_u32_u24_e32 v1, 49, v1
	v_sub_u32_e32 v106, v0, v1
	v_add_u32_e32 v107, 49, v106
	v_add_u32_e32 v108, 0x62, v106
	;; [unrolled: 1-line block ×6, first 2 shown]
                                        ; implicit-def: $vgpr0
; %bb.11:
	s_or_saveexec_b64 s[6:7], s[0:1]
	v_mov_b32_e32 v18, s18
	v_mov_b32_e32 v25, s19
	;; [unrolled: 1-line block ×56, first 2 shown]
                                        ; implicit-def: $vgpr85
                                        ; implicit-def: $vgpr77
                                        ; implicit-def: $vgpr73
                                        ; implicit-def: $vgpr89
                                        ; implicit-def: $vgpr87
                                        ; implicit-def: $vgpr59
                                        ; implicit-def: $vgpr67
                                        ; implicit-def: $vgpr63
                                        ; implicit-def: $vgpr41
                                        ; implicit-def: $vgpr71
                                        ; implicit-def: $vgpr69
                                        ; implicit-def: $vgpr65
                                        ; implicit-def: $vgpr83
                                        ; implicit-def: $vgpr47
                                        ; implicit-def: $vgpr45
                                        ; implicit-def: $vgpr61
                                        ; implicit-def: $vgpr57
                                        ; implicit-def: $vgpr27
                                        ; implicit-def: $vgpr43
                                        ; implicit-def: $vgpr39
                                        ; implicit-def: $vgpr23
	s_xor_b64 exec, exec, s[6:7]
	s_cbranch_execz .LBB0_13
; %bb.12:
	s_add_u32 s0, s16, s14
	s_mov_b32 s14, 0x539782a
	v_mul_hi_u32 v1, v0, s14
	s_addc_u32 s1, s17, s15
	s_load_dwordx2 s[0:1], s[0:1], 0x0
	v_mul_u32_u24_e32 v1, 49, v1
	v_sub_u32_e32 v106, v0, v1
	v_mad_u64_u32 v[1:2], s[14:15], s20, v106, 0
	s_waitcnt lgkmcnt(0)
	v_mul_lo_u32 v7, s1, v12
	v_mul_lo_u32 v8, s0, v13
	v_mad_u64_u32 v[3:4], s[0:1], s0, v12, 0
	v_mov_b32_e32 v0, v2
	v_mad_u64_u32 v[5:6], s[0:1], s21, v106, v[0:1]
	v_add3_u32 v4, v4, v8, v7
	v_lshlrev_b64 v[3:4], 3, v[3:4]
	v_mov_b32_e32 v0, s9
	v_add_co_u32_e64 v7, s[0:1], s8, v3
	v_add_u32_e32 v9, 0x157, v106
	v_mov_b32_e32 v2, v5
	v_addc_co_u32_e64 v8, s[0:1], v0, v4, s[0:1]
	v_mad_u64_u32 v[5:6], s[0:1], s20, v9, 0
	v_lshlrev_b64 v[3:4], 3, v[104:105]
	v_lshlrev_b64 v[1:2], 3, v[1:2]
	v_add_co_u32_e64 v0, s[0:1], v7, v3
	v_mov_b32_e32 v3, v6
	v_addc_co_u32_e64 v11, s[0:1], v8, v4, s[0:1]
	v_mad_u64_u32 v[3:4], s[0:1], s21, v9, v[3:4]
	v_add_u32_e32 v9, 0x2ae, v106
	v_mad_u64_u32 v[7:8], s[0:1], s20, v9, 0
	v_mov_b32_e32 v6, v3
	v_add_co_u32_e64 v1, s[0:1], v0, v1
	v_lshlrev_b64 v[3:4], 3, v[5:6]
	v_mov_b32_e32 v5, v8
	v_addc_co_u32_e64 v2, s[0:1], v11, v2, s[0:1]
	v_mad_u64_u32 v[5:6], s[0:1], s21, v9, v[5:6]
	v_add_u32_e32 v14, 0x405, v106
	v_mad_u64_u32 v[9:10], s[0:1], s20, v14, 0
	v_mov_b32_e32 v8, v5
	v_add_co_u32_e64 v3, s[0:1], v0, v3
	v_lshlrev_b64 v[5:6], 3, v[7:8]
	v_mov_b32_e32 v7, v10
	v_addc_co_u32_e64 v4, s[0:1], v11, v4, s[0:1]
	v_mad_u64_u32 v[7:8], s[0:1], s21, v14, v[7:8]
	v_add_co_u32_e64 v5, s[0:1], v0, v5
	v_mov_b32_e32 v10, v7
	v_add_u32_e32 v14, 0x55c, v106
	v_addc_co_u32_e64 v6, s[0:1], v11, v6, s[0:1]
	v_lshlrev_b64 v[7:8], 3, v[9:10]
	v_mad_u64_u32 v[9:10], s[0:1], s20, v14, 0
	v_add_co_u32_e64 v7, s[0:1], v0, v7
	v_addc_co_u32_e64 v8, s[0:1], v11, v8, s[0:1]
	v_mad_u64_u32 v[14:15], s[0:1], s21, v14, v[10:11]
	v_add_u32_e32 v15, 0x6b3, v106
	v_mad_u64_u32 v[26:27], s[0:1], s20, v15, 0
	global_load_dwordx2 v[20:21], v[1:2], off
	global_load_dwordx2 v[18:19], v[3:4], off
	;; [unrolled: 1-line block ×4, first 2 shown]
	v_add_u32_e32 v8, 0x80a, v106
	v_mov_b32_e32 v3, v27
	v_mad_u64_u32 v[3:4], s[0:1], s21, v15, v[3:4]
	v_mad_u64_u32 v[4:5], s[0:1], s20, v8, 0
	v_mov_b32_e32 v10, v14
	v_lshlrev_b64 v[1:2], 3, v[9:10]
	v_mov_b32_e32 v27, v3
	v_add_co_u32_e64 v1, s[0:1], v0, v1
	v_mov_b32_e32 v3, v5
	v_addc_co_u32_e64 v2, s[0:1], v11, v2, s[0:1]
	v_mad_u64_u32 v[8:9], s[0:1], s21, v8, v[3:4]
	v_add_u32_e32 v107, 49, v106
	v_mad_u64_u32 v[9:10], s[0:1], s20, v107, 0
	v_lshlrev_b64 v[6:7], 3, v[26:27]
	v_mov_b32_e32 v5, v8
	v_add_co_u32_e64 v6, s[0:1], v0, v6
	v_lshlrev_b64 v[3:4], 3, v[4:5]
	v_mov_b32_e32 v5, v10
	v_addc_co_u32_e64 v7, s[0:1], v11, v7, s[0:1]
	v_mad_u64_u32 v[14:15], s[0:1], s21, v107, v[5:6]
	v_add_co_u32_e64 v26, s[0:1], v0, v3
	v_mov_b32_e32 v10, v14
	v_add_u32_e32 v5, 0x188, v106
	v_addc_co_u32_e64 v27, s[0:1], v11, v4, s[0:1]
	v_lshlrev_b64 v[3:4], 3, v[9:10]
	v_mad_u64_u32 v[8:9], s[0:1], s20, v5, 0
	v_add_co_u32_e64 v14, s[0:1], v0, v3
	v_mov_b32_e32 v3, v9
	v_addc_co_u32_e64 v15, s[0:1], v11, v4, s[0:1]
	v_mad_u64_u32 v[9:10], s[0:1], s21, v5, v[3:4]
	v_add_u32_e32 v10, 0x2df, v106
	v_mad_u64_u32 v[28:29], s[0:1], s20, v10, 0
	global_load_dwordx2 v[36:37], v[1:2], off
	global_load_dwordx2 v[38:39], v[6:7], off
	;; [unrolled: 1-line block ×4, first 2 shown]
	v_lshlrev_b64 v[1:2], 3, v[8:9]
	v_mov_b32_e32 v5, v29
	v_mad_u64_u32 v[5:6], s[0:1], s21, v10, v[5:6]
	v_add_u32_e32 v10, 0x436, v106
	v_mad_u64_u32 v[6:7], s[0:1], s20, v10, 0
	v_add_co_u32_e64 v1, s[0:1], v0, v1
	v_mov_b32_e32 v29, v5
	v_mov_b32_e32 v5, v7
	v_addc_co_u32_e64 v2, s[0:1], v11, v2, s[0:1]
	v_mad_u64_u32 v[14:15], s[0:1], s21, v10, v[5:6]
	v_add_u32_e32 v10, 0x58d, v106
	v_mad_u64_u32 v[26:27], s[0:1], s20, v10, 0
	v_lshlrev_b64 v[8:9], 3, v[28:29]
	v_mov_b32_e32 v7, v14
	v_add_co_u32_e64 v8, s[0:1], v0, v8
	v_lshlrev_b64 v[5:6], 3, v[6:7]
	v_mov_b32_e32 v7, v27
	v_addc_co_u32_e64 v9, s[0:1], v11, v9, s[0:1]
	v_mad_u64_u32 v[14:15], s[0:1], s21, v10, v[7:8]
	v_add_co_u32_e64 v5, s[0:1], v0, v5
	v_add_u32_e32 v10, 0x6e4, v106
	v_addc_co_u32_e64 v6, s[0:1], v11, v6, s[0:1]
	v_mad_u64_u32 v[28:29], s[0:1], s20, v10, 0
	v_mov_b32_e32 v27, v14
	v_lshlrev_b64 v[14:15], 3, v[26:27]
	v_mov_b32_e32 v7, v29
	v_add_co_u32_e64 v14, s[0:1], v0, v14
	v_addc_co_u32_e64 v15, s[0:1], v11, v15, s[0:1]
	v_mad_u64_u32 v[29:30], s[0:1], s21, v10, v[7:8]
	v_add_u32_e32 v7, 0x83b, v106
	v_mad_u64_u32 v[40:41], s[0:1], s20, v7, 0
	global_load_dwordx2 v[34:35], v[1:2], off
	global_load_dwordx2 v[32:33], v[8:9], off
	;; [unrolled: 1-line block ×4, first 2 shown]
	v_add_u32_e32 v108, 0x62, v106
	v_mov_b32_e32 v5, v41
	v_mad_u64_u32 v[5:6], s[0:1], s21, v7, v[5:6]
	v_mad_u64_u32 v[6:7], s[0:1], s20, v108, 0
	v_lshlrev_b64 v[1:2], 3, v[28:29]
	v_mov_b32_e32 v41, v5
	v_add_co_u32_e64 v8, s[0:1], v0, v1
	v_mov_b32_e32 v5, v7
	v_add_u32_e32 v10, 0x1b9, v106
	v_addc_co_u32_e64 v9, s[0:1], v11, v2, s[0:1]
	v_mad_u64_u32 v[14:15], s[0:1], s21, v108, v[5:6]
	v_mad_u64_u32 v[28:29], s[0:1], s20, v10, 0
	v_lshlrev_b64 v[1:2], 3, v[40:41]
	v_mov_b32_e32 v7, v14
	v_add_co_u32_e64 v40, s[0:1], v0, v1
	v_mov_b32_e32 v5, v29
	v_addc_co_u32_e64 v41, s[0:1], v11, v2, s[0:1]
	v_lshlrev_b64 v[1:2], 3, v[6:7]
	v_mad_u64_u32 v[5:6], s[0:1], s21, v10, v[5:6]
	v_add_co_u32_e64 v6, s[0:1], v0, v1
	v_mov_b32_e32 v29, v5
	v_add_u32_e32 v5, 0x310, v106
	v_addc_co_u32_e64 v7, s[0:1], v11, v2, s[0:1]
	v_mad_u64_u32 v[14:15], s[0:1], s20, v5, 0
	v_lshlrev_b64 v[1:2], 3, v[28:29]
	v_add_u32_e32 v10, 0x467, v106
	v_add_co_u32_e64 v44, s[0:1], v0, v1
	v_mov_b32_e32 v1, v15
	v_addc_co_u32_e64 v45, s[0:1], v11, v2, s[0:1]
	v_mad_u64_u32 v[46:47], s[0:1], s21, v5, v[1:2]
	v_mad_u64_u32 v[47:48], s[0:1], s20, v10, 0
	global_load_dwordx2 v[56:57], v[8:9], off
	global_load_dwordx2 v[60:61], v[40:41], off
	;; [unrolled: 1-line block ×4, first 2 shown]
	v_mov_b32_e32 v15, v46
	v_mov_b32_e32 v7, v48
	v_mad_u64_u32 v[7:8], s[0:1], s21, v10, v[7:8]
	v_add_u32_e32 v10, 0x5be, v106
	v_mad_u64_u32 v[8:9], s[0:1], s20, v10, 0
	v_lshlrev_b64 v[5:6], 3, v[14:15]
	v_mov_b32_e32 v48, v7
	v_add_co_u32_e64 v5, s[0:1], v0, v5
	v_mov_b32_e32 v7, v9
	v_addc_co_u32_e64 v6, s[0:1], v11, v6, s[0:1]
	v_mad_u64_u32 v[9:10], s[0:1], s21, v10, v[7:8]
	v_add_u32_e32 v10, 0x715, v106
	v_mad_u64_u32 v[40:41], s[0:1], s20, v10, 0
	v_lshlrev_b64 v[14:15], 3, v[47:48]
	v_lshlrev_b64 v[7:8], 3, v[8:9]
	v_add_co_u32_e64 v14, s[0:1], v0, v14
	v_mov_b32_e32 v9, v41
	v_addc_co_u32_e64 v15, s[0:1], v11, v15, s[0:1]
	v_mad_u64_u32 v[9:10], s[0:1], s21, v10, v[9:10]
	v_add_co_u32_e64 v7, s[0:1], v0, v7
	v_mov_b32_e32 v41, v9
	v_add_u32_e32 v44, 0x86c, v106
	v_addc_co_u32_e64 v8, s[0:1], v11, v8, s[0:1]
	v_lshlrev_b64 v[9:10], 3, v[40:41]
	v_mad_u64_u32 v[40:41], s[0:1], s20, v44, 0
	v_add_co_u32_e64 v9, s[0:1], v0, v9
	v_addc_co_u32_e64 v10, s[0:1], v11, v10, s[0:1]
	s_waitcnt vmcnt(9)
	v_mad_u64_u32 v[48:49], s[0:1], s21, v44, v[41:42]
	v_add_u32_e32 v109, 0x93, v106
	v_mad_u64_u32 v[49:50], s[0:1], s20, v109, 0
	global_load_dwordx2 v[54:55], v[5:6], off
	global_load_dwordx2 v[44:45], v[14:15], off
	;; [unrolled: 1-line block ×4, first 2 shown]
	v_add_u32_e32 v10, 0x1ea, v106
	v_mov_b32_e32 v7, v50
	v_mad_u64_u32 v[7:8], s[0:1], s21, v109, v[7:8]
	v_mad_u64_u32 v[8:9], s[0:1], s20, v10, 0
	v_mov_b32_e32 v41, v48
	v_lshlrev_b64 v[5:6], 3, v[40:41]
	v_mov_b32_e32 v50, v7
	v_add_co_u32_e64 v14, s[0:1], v0, v5
	v_mov_b32_e32 v7, v9
	v_addc_co_u32_e64 v15, s[0:1], v11, v6, s[0:1]
	v_mad_u64_u32 v[9:10], s[0:1], s21, v10, v[7:8]
	v_add_u32_e32 v10, 0x341, v106
	v_mad_u64_u32 v[40:41], s[0:1], s20, v10, 0
	v_lshlrev_b64 v[5:6], 3, v[49:50]
	v_add_u32_e32 v110, 0xc4, v106
	v_add_co_u32_e64 v58, s[0:1], v0, v5
	v_mov_b32_e32 v7, v41
	v_addc_co_u32_e64 v59, s[0:1], v11, v6, s[0:1]
	v_lshlrev_b64 v[5:6], 3, v[8:9]
	v_mad_u64_u32 v[7:8], s[0:1], s21, v10, v[7:8]
	v_add_co_u32_e64 v8, s[0:1], v0, v5
	v_mov_b32_e32 v41, v7
	v_add_u32_e32 v7, 0x498, v106
	v_addc_co_u32_e64 v9, s[0:1], v11, v6, s[0:1]
	v_lshlrev_b64 v[5:6], 3, v[40:41]
	v_mad_u64_u32 v[40:41], s[0:1], s20, v7, 0
	v_add_co_u32_e64 v62, s[0:1], v0, v5
	v_mov_b32_e32 v5, v41
	v_addc_co_u32_e64 v63, s[0:1], v11, v6, s[0:1]
	v_mad_u64_u32 v[64:65], s[0:1], s21, v7, v[5:6]
	v_add_u32_e32 v10, 0x5ef, v106
	v_mad_u64_u32 v[65:66], s[0:1], s20, v10, 0
	v_mov_b32_e32 v41, v64
	global_load_dwordx2 v[82:83], v[14:15], off
	global_load_dwordx2 v[5:6], v[58:59], off
	global_load_dwordx2 v[50:51], v[8:9], off
	global_load_dwordx2 v[48:49], v[62:63], off
	v_lshlrev_b64 v[7:8], 3, v[40:41]
	v_add_u32_e32 v40, 0x746, v106
	v_mad_u64_u32 v[14:15], s[0:1], s20, v40, 0
	v_mov_b32_e32 v9, v66
	v_mad_u64_u32 v[9:10], s[0:1], s21, v10, v[9:10]
	v_add_co_u32_e64 v7, s[0:1], v0, v7
	v_addc_co_u32_e64 v8, s[0:1], v11, v8, s[0:1]
	v_mad_u64_u32 v[40:41], s[0:1], s21, v40, v[15:16]
	v_add_u32_e32 v41, 0x89d, v106
	v_mad_u64_u32 v[58:59], s[0:1], s20, v41, 0
	v_mov_b32_e32 v66, v9
	v_lshlrev_b64 v[9:10], 3, v[65:66]
	v_mov_b32_e32 v15, v40
	v_add_co_u32_e64 v9, s[0:1], v0, v9
	v_mov_b32_e32 v40, v59
	v_addc_co_u32_e64 v10, s[0:1], v11, v10, s[0:1]
	v_mad_u64_u32 v[40:41], s[0:1], s21, v41, v[40:41]
	v_lshlrev_b64 v[14:15], 3, v[14:15]
	v_add_u32_e32 v111, 0xf5, v106
	v_add_co_u32_e64 v14, s[0:1], v0, v14
	v_mov_b32_e32 v59, v40
	v_addc_co_u32_e64 v15, s[0:1], v11, v15, s[0:1]
	v_lshlrev_b64 v[40:41], 3, v[58:59]
	v_mad_u64_u32 v[58:59], s[0:1], s20, v110, 0
	v_add_co_u32_e64 v40, s[0:1], v0, v40
	v_addc_co_u32_e64 v41, s[0:1], v11, v41, s[0:1]
	s_waitcnt vmcnt(10)
	v_mad_u64_u32 v[62:63], s[0:1], s21, v110, v[59:60]
	v_add_u32_e32 v63, 0x21b, v106
	v_mad_u64_u32 v[66:67], s[0:1], s20, v63, 0
	global_load_dwordx2 v[64:65], v[7:8], off
	global_load_dwordx2 v[80:81], v[9:10], off
	;; [unrolled: 1-line block ×4, first 2 shown]
	v_mov_b32_e32 v59, v62
	v_mov_b32_e32 v9, v67
	v_mad_u64_u32 v[9:10], s[0:1], s21, v63, v[9:10]
	v_add_u32_e32 v10, 0x372, v106
	v_mad_u64_u32 v[14:15], s[0:1], s20, v10, 0
	v_lshlrev_b64 v[7:8], 3, v[58:59]
	v_mov_b32_e32 v67, v9
	v_add_co_u32_e64 v58, s[0:1], v0, v7
	v_mov_b32_e32 v9, v15
	v_addc_co_u32_e64 v59, s[0:1], v11, v8, s[0:1]
	v_mad_u64_u32 v[9:10], s[0:1], s21, v10, v[9:10]
	v_add_u32_e32 v10, 0x4c9, v106
	v_mad_u64_u32 v[40:41], s[0:1], s20, v10, 0
	v_lshlrev_b64 v[7:8], 3, v[66:67]
	v_mov_b32_e32 v15, v9
	v_add_co_u32_e64 v62, s[0:1], v0, v7
	v_mov_b32_e32 v9, v41
	v_addc_co_u32_e64 v63, s[0:1], v11, v8, s[0:1]
	v_mad_u64_u32 v[9:10], s[0:1], s21, v10, v[9:10]
	v_lshlrev_b64 v[7:8], 3, v[14:15]
	v_add_u32_e32 v89, 0x3a3, v106
	v_add_co_u32_e64 v14, s[0:1], v0, v7
	v_mov_b32_e32 v41, v9
	v_addc_co_u32_e64 v15, s[0:1], v11, v8, s[0:1]
	v_lshlrev_b64 v[7:8], 3, v[40:41]
	v_add_u32_e32 v40, 0x620, v106
	v_mad_u64_u32 v[9:10], s[0:1], s20, v40, 0
	v_add_co_u32_e64 v66, s[0:1], v0, v7
	v_mov_b32_e32 v7, v10
	v_addc_co_u32_e64 v67, s[0:1], v11, v8, s[0:1]
	v_mad_u64_u32 v[72:73], s[0:1], s21, v40, v[7:8]
	global_load_dwordx2 v[7:8], v[58:59], off
	global_load_dwordx2 v[78:79], v[62:63], off
	;; [unrolled: 1-line block ×4, first 2 shown]
	v_add_u32_e32 v73, 0x777, v106
	v_mad_u64_u32 v[76:77], s[0:1], s20, v73, 0
	v_mov_b32_e32 v10, v72
	v_lshlrev_b64 v[9:10], 3, v[9:10]
	v_mov_b32_e32 v14, v77
	v_mad_u64_u32 v[14:15], s[0:1], s21, v73, v[14:15]
	v_add_u32_e32 v15, 0x8ce, v106
	v_mad_u64_u32 v[58:59], s[0:1], s20, v15, 0
	v_add_co_u32_e64 v72, s[0:1], v0, v9
	v_mov_b32_e32 v77, v14
	v_mov_b32_e32 v14, v59
	v_addc_co_u32_e64 v73, s[0:1], v11, v10, s[0:1]
	v_mad_u64_u32 v[14:15], s[0:1], s21, v15, v[14:15]
	v_mad_u64_u32 v[62:63], s[0:1], s20, v111, 0
	v_lshlrev_b64 v[9:10], 3, v[76:77]
	v_mov_b32_e32 v59, v14
	v_add_co_u32_e64 v76, s[0:1], v0, v9
	v_mov_b32_e32 v14, v63
	v_addc_co_u32_e64 v77, s[0:1], v11, v10, s[0:1]
	v_mad_u64_u32 v[14:15], s[0:1], s21, v111, v[14:15]
	v_lshlrev_b64 v[9:10], 3, v[58:59]
	v_add_u32_e32 v91, 0x8ff, v106
	v_add_co_u32_e64 v58, s[0:1], v0, v9
	v_mov_b32_e32 v63, v14
	v_addc_co_u32_e64 v59, s[0:1], v11, v10, s[0:1]
	v_lshlrev_b64 v[9:10], 3, v[62:63]
	v_add_u32_e32 v62, 0x24c, v106
	v_mad_u64_u32 v[14:15], s[0:1], s20, v62, 0
	v_add_co_u32_e64 v84, s[0:1], v0, v9
	v_mov_b32_e32 v9, v15
	v_addc_co_u32_e64 v85, s[0:1], v11, v10, s[0:1]
	v_mad_u64_u32 v[86:87], s[0:1], s21, v62, v[9:10]
	v_mad_u64_u32 v[87:88], s[0:1], s20, v89, 0
	global_load_dwordx2 v[98:99], v[72:73], off
	global_load_dwordx2 v[62:63], v[76:77], off
	;; [unrolled: 1-line block ×4, first 2 shown]
	v_add_u32_e32 v76, 0x4fa, v106
	v_mov_b32_e32 v15, v86
	v_mad_u64_u32 v[72:73], s[0:1], s20, v76, 0
	v_lshlrev_b64 v[14:15], 3, v[14:15]
	v_mov_b32_e32 v58, v88
	v_mad_u64_u32 v[58:59], s[0:1], s21, v89, v[58:59]
	v_add_co_u32_e64 v14, s[0:1], v0, v14
	v_addc_co_u32_e64 v15, s[0:1], v11, v15, s[0:1]
	v_mov_b32_e32 v88, v58
	v_lshlrev_b64 v[58:59], 3, v[87:88]
	v_add_u32_e32 v88, 0x7a8, v106
	v_add_u32_e32 v112, 0x126, v106
	s_waitcnt vmcnt(5)
	v_mad_u64_u32 v[76:77], s[0:1], s21, v76, v[73:74]
	v_add_u32_e32 v77, 0x651, v106
	v_mad_u64_u32 v[84:85], s[0:1], s20, v77, 0
	v_add_co_u32_e64 v86, s[0:1], v0, v58
	v_mov_b32_e32 v73, v76
	v_addc_co_u32_e64 v87, s[0:1], v11, v59, s[0:1]
	v_lshlrev_b64 v[58:59], 3, v[72:73]
	v_mov_b32_e32 v72, v85
	v_mad_u64_u32 v[72:73], s[0:1], s21, v77, v[72:73]
	v_add_co_u32_e64 v76, s[0:1], v0, v58
	v_addc_co_u32_e64 v77, s[0:1], v11, v59, s[0:1]
	v_mov_b32_e32 v85, v72
	v_mad_u64_u32 v[72:73], s[0:1], s20, v88, 0
	v_lshlrev_b64 v[58:59], 3, v[84:85]
	v_add_co_u32_e64 v84, s[0:1], v0, v58
	v_mov_b32_e32 v58, v73
	v_addc_co_u32_e64 v85, s[0:1], v11, v59, s[0:1]
	v_mad_u64_u32 v[88:89], s[0:1], s21, v88, v[58:59]
	v_mad_u64_u32 v[89:90], s[0:1], s20, v91, 0
	v_mov_b32_e32 v73, v88
	global_load_dwordx2 v[96:97], v[14:15], off
	global_load_dwordx2 v[94:95], v[86:87], off
	;; [unrolled: 1-line block ×4, first 2 shown]
	v_lshlrev_b64 v[14:15], 3, v[72:73]
	v_mov_b32_e32 v72, v90
	v_mad_u64_u32 v[72:73], s[0:1], s21, v91, v[72:73]
	v_mad_u64_u32 v[76:77], s[0:1], s20, v112, 0
	v_add_co_u32_e64 v84, s[0:1], v0, v14
	v_mov_b32_e32 v90, v72
	v_mov_b32_e32 v72, v77
	v_addc_co_u32_e64 v85, s[0:1], v11, v15, s[0:1]
	v_mad_u64_u32 v[72:73], s[0:1], s21, v112, v[72:73]
	v_add_u32_e32 v73, 0x27d, v106
	v_mad_u64_u32 v[86:87], s[0:1], s20, v73, 0
	v_lshlrev_b64 v[14:15], 3, v[89:90]
	v_mov_b32_e32 v77, v72
	v_add_co_u32_e64 v100, s[0:1], v0, v14
	v_mov_b32_e32 v72, v87
	v_addc_co_u32_e64 v101, s[0:1], v11, v15, s[0:1]
	v_mad_u64_u32 v[72:73], s[0:1], s21, v73, v[72:73]
	v_lshlrev_b64 v[14:15], 3, v[76:77]
	v_add_co_u32_e64 v76, s[0:1], v0, v14
	v_mov_b32_e32 v87, v72
	v_addc_co_u32_e64 v77, s[0:1], v11, v15, s[0:1]
	v_lshlrev_b64 v[14:15], 3, v[86:87]
	v_add_u32_e32 v86, 0x3d4, v106
	v_mad_u64_u32 v[72:73], s[0:1], s20, v86, 0
	v_add_co_u32_e64 v102, s[0:1], v0, v14
	v_mov_b32_e32 v14, v73
	v_addc_co_u32_e64 v103, s[0:1], v11, v15, s[0:1]
	v_mad_u64_u32 v[104:105], s[0:1], s21, v86, v[14:15]
	v_add_u32_e32 v105, 0x52b, v106
	v_mad_u64_u32 v[113:114], s[0:1], s20, v105, 0
	global_load_dwordx2 v[86:87], v[84:85], off
	global_load_dwordx2 v[88:89], v[100:101], off
	;; [unrolled: 1-line block ×4, first 2 shown]
	v_mov_b32_e32 v73, v104
	v_mov_b32_e32 v76, v114
	v_mad_u64_u32 v[76:77], s[0:1], s21, v105, v[76:77]
	v_add_u32_e32 v77, 0x682, v106
	v_mad_u64_u32 v[84:85], s[0:1], s20, v77, 0
	v_lshlrev_b64 v[72:73], 3, v[72:73]
	v_mov_b32_e32 v114, v76
	v_add_co_u32_e64 v104, s[0:1], v0, v72
	v_mov_b32_e32 v76, v85
	v_addc_co_u32_e64 v105, s[0:1], v11, v73, s[0:1]
	v_mad_u64_u32 v[76:77], s[0:1], s21, v77, v[76:77]
	v_add_u32_e32 v77, 0x7d9, v106
	v_mad_u64_u32 v[100:101], s[0:1], s20, v77, 0
	v_lshlrev_b64 v[72:73], 3, v[113:114]
	v_mov_b32_e32 v85, v76
	v_add_co_u32_e64 v113, s[0:1], v0, v72
	v_mov_b32_e32 v76, v101
	v_addc_co_u32_e64 v114, s[0:1], v11, v73, s[0:1]
	v_mad_u64_u32 v[76:77], s[0:1], s21, v77, v[76:77]
	v_lshlrev_b64 v[72:73], 3, v[84:85]
	v_add_co_u32_e64 v84, s[0:1], v0, v72
	v_mov_b32_e32 v101, v76
	v_add_u32_e32 v76, 0x930, v106
	v_addc_co_u32_e64 v85, s[0:1], v11, v73, s[0:1]
	v_mad_u64_u32 v[115:116], s[0:1], s20, v76, 0
	v_lshlrev_b64 v[72:73], 3, v[100:101]
	v_add_co_u32_e64 v117, s[0:1], v0, v72
	v_mov_b32_e32 v72, v116
	v_addc_co_u32_e64 v118, s[0:1], v11, v73, s[0:1]
	v_mad_u64_u32 v[119:120], s[0:1], s21, v76, v[72:73]
	global_load_dwordx2 v[102:103], v[104:105], off
	global_load_dwordx2 v[72:73], v[113:114], off
	;; [unrolled: 1-line block ×4, first 2 shown]
	v_mov_b32_e32 v116, v119
	v_lshlrev_b64 v[84:85], 3, v[115:116]
	v_add_co_u32_e64 v84, s[0:1], v0, v84
	v_addc_co_u32_e64 v85, s[0:1], v11, v85, s[0:1]
	global_load_dwordx2 v[84:85], v[84:85], off
.LBB0_13:
	s_or_b64 exec, exec, s[6:7]
	v_add_f32_e32 v0, v42, v18
	v_sub_f32_e32 v18, v18, v42
	v_add_f32_e32 v42, v38, v24
	v_add_f32_e32 v11, v43, v19
	v_sub_f32_e32 v19, v19, v43
	v_add_f32_e32 v43, v39, v25
	v_sub_f32_e32 v24, v24, v38
	;; [unrolled: 2-line block ×6, first 2 shown]
	v_sub_f32_e32 v105, v0, v38
	v_add_f32_e32 v0, v24, v22
	v_sub_f32_e32 v113, v22, v24
	v_sub_f32_e32 v123, v24, v18
	v_add_f32_e32 v24, v36, v38
	v_sub_f32_e32 v119, v43, v11
	v_sub_f32_e32 v120, v11, v39
	;; [unrolled: 1-line block ×4, first 2 shown]
	v_add_f32_e32 v43, v25, v23
	v_sub_f32_e32 v114, v23, v25
	v_sub_f32_e32 v121, v18, v22
	;; [unrolled: 1-line block ×4, first 2 shown]
	v_add_f32_e32 v25, v37, v39
	v_add_f32_e32 v122, v18, v0
	;; [unrolled: 1-line block ×3, first 2 shown]
	s_load_dwordx2 s[0:1], s[4:5], 0x0
	v_add_f32_e32 v18, v19, v43
	v_add_f32_e32 v125, v25, v21
	v_mul_f32_e32 v19, 0x3f4a47b2, v105
	v_mul_f32_e32 v20, 0x3d64c772, v11
	;; [unrolled: 1-line block ×3, first 2 shown]
	s_mov_b32 s5, 0xbf5ff5aa
	v_mul_f32_e32 v21, 0xbf5ff5aa, v23
	v_mov_b32_e32 v37, v0
	s_mov_b32 s4, 0x3f3bfb3b
	s_mov_b32 s6, 0xbf3bfb3b
	;; [unrolled: 1-line block ×3, first 2 shown]
	v_fmac_f32_e32 v37, 0xbf955555, v24
	v_fma_f32 v24, v104, s4, -v20
	v_fma_f32 v19, v104, s6, -v19
	;; [unrolled: 1-line block ×3, first 2 shown]
	v_fmac_f32_e32 v36, 0xbeae86e6, v22
	v_fma_f32 v22, v22, s7, -v21
	v_add_f32_e32 v21, v24, v37
	v_add_f32_e32 v24, v19, v37
	v_fmac_f32_e32 v22, 0xbee1c552, v18
	v_add_f32_e32 v19, v24, v22
	v_sub_f32_e32 v22, v24, v22
	v_add_f32_e32 v24, v60, v34
	v_sub_f32_e32 v128, v34, v60
	v_add_f32_e32 v34, v56, v32
	v_mov_b32_e32 v126, v125
	v_fmac_f32_e32 v20, 0x3f4a47b2, v105
	v_add_f32_e32 v131, v57, v33
	v_sub_f32_e32 v129, v32, v56
	v_sub_f32_e32 v32, v33, v57
	v_add_f32_e32 v33, v26, v30
	v_add_f32_e32 v133, v27, v31
	v_sub_f32_e32 v132, v30, v26
	v_sub_f32_e32 v26, v31, v27
	v_add_f32_e32 v27, v24, v34
	v_fmac_f32_e32 v126, 0xbf955555, v25
	v_add_f32_e32 v25, v20, v37
	v_fmac_f32_e32 v36, 0xbee1c552, v18
	v_fmac_f32_e32 v23, 0xbee1c552, v18
	v_add_f32_e32 v27, v27, v33
	v_add_f32_e32 v18, v25, v36
	v_sub_f32_e32 v20, v21, v23
	v_add_f32_e32 v21, v21, v23
	v_sub_f32_e32 v23, v25, v36
	;; [unrolled: 2-line block ×3, first 2 shown]
	v_sub_f32_e32 v30, v34, v24
	v_sub_f32_e32 v24, v24, v33
	;; [unrolled: 1-line block ×3, first 2 shown]
	v_add_f32_e32 v34, v32, v26
	v_sub_f32_e32 v35, v26, v32
	v_add_f32_e32 v3, v27, v3
	v_sub_f32_e32 v26, v25, v26
	v_sub_f32_e32 v32, v32, v25
	v_add_f32_e32 v25, v25, v34
	v_mul_f32_e32 v33, 0x3f4a47b2, v24
	v_mul_f32_e32 v31, 0x3d64c772, v31
	;; [unrolled: 1-line block ×3, first 2 shown]
	v_mov_b32_e32 v36, v3
	v_mul_f32_e32 v35, 0xbf5ff5aa, v32
	v_fmac_f32_e32 v36, 0xbf955555, v27
	v_fma_f32 v27, v30, s4, -v31
	v_fmac_f32_e32 v31, 0x3f4a47b2, v24
	v_fma_f32 v24, v30, s6, -v33
	v_fma_f32 v30, v32, s5, -v34
	v_fmac_f32_e32 v34, 0xbeae86e6, v26
	v_fma_f32 v26, v26, s7, -v35
	v_add_f32_e32 v27, v27, v36
	v_fmac_f32_e32 v30, 0xbee1c552, v25
	v_add_f32_e32 v31, v31, v36
	v_add_f32_e32 v24, v24, v36
	v_fmac_f32_e32 v34, 0xbee1c552, v25
	v_fmac_f32_e32 v26, 0xbee1c552, v25
	v_sub_f32_e32 v33, v27, v30
	v_add_f32_e32 v27, v27, v30
	v_add_f32_e32 v30, v82, v28
	v_add_f32_e32 v114, v83, v29
	v_sub_f32_e32 v60, v28, v82
	v_sub_f32_e32 v28, v29, v83
	v_add_f32_e32 v29, v46, v54
	v_add_f32_e32 v25, v31, v34
	;; [unrolled: 1-line block ×3, first 2 shown]
	v_sub_f32_e32 v24, v24, v26
	v_sub_f32_e32 v26, v31, v34
	v_add_f32_e32 v34, v44, v52
	v_add_f32_e32 v36, v30, v29
	v_sub_f32_e32 v31, v55, v47
	v_sub_f32_e32 v35, v53, v45
	;; [unrolled: 1-line block ×5, first 2 shown]
	v_add_f32_e32 v34, v36, v34
	v_add_f32_e32 v38, v31, v35
	v_sub_f32_e32 v39, v35, v31
	v_add_f32_e32 v1, v34, v1
	v_mul_f32_e32 v11, 0x3d64c772, v42
	v_sub_f32_e32 v35, v28, v35
	v_sub_f32_e32 v31, v31, v28
	v_add_f32_e32 v28, v28, v38
	v_mul_f32_e32 v29, 0x3d64c772, v29
	v_mul_f32_e32 v38, 0x3f08b237, v39
	v_mov_b32_e32 v42, v1
	v_mul_f32_e32 v39, 0xbf5ff5aa, v31
	v_fmac_f32_e32 v42, 0xbf955555, v34
	v_fma_f32 v34, v37, s4, -v29
	v_fmac_f32_e32 v29, 0x3f4a47b2, v30
	v_fma_f32 v31, v31, s5, -v38
	v_fmac_f32_e32 v38, 0xbeae86e6, v35
	v_mul_f32_e32 v36, 0x3f4a47b2, v30
	v_fma_f32 v35, v35, s7, -v39
	v_add_f32_e32 v29, v29, v42
	v_add_f32_e32 v34, v34, v42
	v_fmac_f32_e32 v38, 0xbee1c552, v28
	v_fmac_f32_e32 v31, 0xbee1c552, v28
	v_fma_f32 v30, v37, s6, -v36
	v_fmac_f32_e32 v35, 0xbee1c552, v28
	v_add_f32_e32 v28, v29, v38
	v_sub_f32_e32 v37, v34, v31
	v_add_f32_e32 v31, v34, v31
	v_sub_f32_e32 v29, v29, v38
	v_add_f32_e32 v34, v70, v50
	v_add_f32_e32 v38, v68, v48
	v_sub_f32_e32 v116, v52, v44
	v_add_f32_e32 v30, v30, v42
	v_add_f32_e32 v42, v64, v80
	;; [unrolled: 1-line block ×4, first 2 shown]
	v_sub_f32_e32 v39, v49, v69
	v_sub_f32_e32 v43, v81, v65
	;; [unrolled: 1-line block ×5, first 2 shown]
	v_add_f32_e32 v42, v44, v42
	v_mul_f32_e32 v124, 0x3f08b237, v113
	v_add_f32_e32 v115, v47, v55
	v_sub_f32_e32 v113, v54, v46
	v_add_f32_e32 v36, v30, v35
	v_sub_f32_e32 v30, v30, v35
	v_sub_f32_e32 v35, v51, v71
	v_add_f32_e32 v46, v39, v43
	v_sub_f32_e32 v47, v43, v39
	v_add_f32_e32 v5, v42, v5
	v_sub_f32_e32 v68, v48, v68
	v_sub_f32_e32 v43, v35, v43
	;; [unrolled: 1-line block ×3, first 2 shown]
	v_add_f32_e32 v35, v35, v46
	v_mul_f32_e32 v38, 0x3d64c772, v38
	v_mul_f32_e32 v46, 0x3f08b237, v47
	v_mov_b32_e32 v48, v5
	v_mul_f32_e32 v44, 0x3f4a47b2, v34
	v_mul_f32_e32 v47, 0xbf5ff5aa, v39
	v_fmac_f32_e32 v48, 0xbf955555, v42
	v_fma_f32 v42, v45, s4, -v38
	v_fmac_f32_e32 v38, 0x3f4a47b2, v34
	v_fma_f32 v39, v39, s5, -v46
	;; [unrolled: 2-line block ×3, first 2 shown]
	v_fma_f32 v43, v43, s7, -v47
	v_add_f32_e32 v38, v38, v48
	v_add_f32_e32 v42, v42, v48
	v_fmac_f32_e32 v46, 0xbee1c552, v35
	v_fmac_f32_e32 v39, 0xbee1c552, v35
	v_add_f32_e32 v34, v34, v48
	v_fmac_f32_e32 v43, 0xbee1c552, v35
	v_add_f32_e32 v35, v38, v46
	v_sub_f32_e32 v45, v42, v39
	v_add_f32_e32 v39, v42, v39
	v_sub_f32_e32 v38, v38, v46
	s_waitcnt vmcnt(14)
	v_add_f32_e32 v42, v66, v78
	v_add_f32_e32 v46, v62, v74
	;; [unrolled: 1-line block ×5, first 2 shown]
	v_sub_f32_e32 v64, v80, v64
	v_add_f32_e32 v44, v34, v43
	v_sub_f32_e32 v34, v34, v43
	v_add_f32_e32 v80, v67, v79
	v_sub_f32_e32 v65, v78, v66
	v_sub_f32_e32 v43, v79, v67
	v_add_f32_e32 v67, v63, v75
	v_sub_f32_e32 v66, v74, v62
	v_sub_f32_e32 v47, v75, v63
	v_add_f32_e32 v48, v40, v98
	v_add_f32_e32 v74, v41, v99
	v_sub_f32_e32 v63, v98, v40
	v_sub_f32_e32 v40, v99, v41
	v_add_f32_e32 v41, v42, v46
	v_add_f32_e32 v41, v41, v48
	v_sub_f32_e32 v70, v50, v70
	v_sub_f32_e32 v49, v46, v42
	;; [unrolled: 1-line block ×4, first 2 shown]
	v_add_f32_e32 v50, v47, v40
	v_sub_f32_e32 v51, v40, v47
	v_sub_f32_e32 v47, v47, v43
	v_add_f32_e32 v7, v41, v7
	v_sub_f32_e32 v40, v43, v40
	v_add_f32_e32 v43, v43, v50
	v_mul_f32_e32 v48, 0x3f4a47b2, v42
	v_mul_f32_e32 v46, 0x3d64c772, v46
	;; [unrolled: 1-line block ×4, first 2 shown]
	v_mov_b32_e32 v52, v7
	v_fmac_f32_e32 v52, 0xbf955555, v41
	v_fma_f32 v41, v49, s4, -v46
	v_fmac_f32_e32 v46, 0x3f4a47b2, v42
	v_fma_f32 v42, v49, s6, -v48
	v_fma_f32 v47, v47, s5, -v50
	v_fmac_f32_e32 v50, 0xbeae86e6, v40
	v_fma_f32 v40, v40, s7, -v51
	v_add_f32_e32 v46, v46, v52
	v_add_f32_e32 v42, v42, v52
	v_fmac_f32_e32 v50, 0xbee1c552, v43
	v_fmac_f32_e32 v40, 0xbee1c552, v43
	;; [unrolled: 1-line block ×3, first 2 shown]
	v_add_f32_e32 v43, v46, v50
	v_add_f32_e32 v48, v42, v40
	v_sub_f32_e32 v40, v42, v40
	v_sub_f32_e32 v42, v46, v50
	s_waitcnt vmcnt(7)
	v_add_f32_e32 v46, v88, v96
	v_add_f32_e32 v50, v86, v94
	;; [unrolled: 1-line block ×5, first 2 shown]
	v_sub_f32_e32 v51, v95, v87
	v_sub_f32_e32 v53, v93, v59
	;; [unrolled: 1-line block ×5, first 2 shown]
	v_add_f32_e32 v52, v54, v52
	v_sub_f32_e32 v49, v41, v47
	v_add_f32_e32 v41, v41, v47
	v_sub_f32_e32 v47, v97, v89
	;; [unrolled: 2-line block ×4, first 2 shown]
	v_sub_f32_e32 v51, v51, v47
	v_add_f32_e32 v47, v47, v56
	v_mul_f32_e32 v50, 0x3d64c772, v50
	v_mul_f32_e32 v56, 0x3f08b237, v57
	v_mov_b32_e32 v57, v9
	v_mul_f32_e32 v54, 0x3f4a47b2, v46
	v_fmac_f32_e32 v57, 0xbf955555, v52
	v_fma_f32 v52, v55, s4, -v50
	v_fmac_f32_e32 v50, 0x3f4a47b2, v46
	v_mul_f32_e32 v46, 0xbf5ff5aa, v51
	v_fma_f32 v51, v51, s5, -v56
	v_fmac_f32_e32 v56, 0xbeae86e6, v53
	v_fma_f32 v46, v53, s7, -v46
	v_add_f32_e32 v50, v50, v57
	v_add_f32_e32 v52, v52, v57
	v_fmac_f32_e32 v56, 0xbee1c552, v47
	v_fmac_f32_e32 v51, 0xbee1c552, v47
	v_fma_f32 v54, v55, s6, -v54
	v_fmac_f32_e32 v46, 0xbee1c552, v47
	v_add_f32_e32 v47, v50, v56
	v_sub_f32_e32 v55, v52, v51
	v_add_f32_e32 v51, v52, v51
	v_sub_f32_e32 v50, v50, v56
	s_waitcnt vmcnt(0)
	v_add_f32_e32 v52, v84, v90
	v_add_f32_e32 v56, v76, v102
	v_sub_f32_e32 v75, v96, v88
	v_add_f32_e32 v88, v87, v95
	v_sub_f32_e32 v87, v92, v58
	v_add_f32_e32 v53, v54, v57
	v_add_f32_e32 v58, v72, v100
	;; [unrolled: 1-line block ×4, first 2 shown]
	v_sub_f32_e32 v46, v53, v46
	v_add_f32_e32 v92, v85, v91
	v_sub_f32_e32 v53, v91, v85
	v_add_f32_e32 v91, v77, v103
	;; [unrolled: 2-line block ×3, first 2 shown]
	v_sub_f32_e32 v61, v101, v73
	v_sub_f32_e32 v73, v56, v52
	;; [unrolled: 1-line block ×4, first 2 shown]
	v_add_f32_e32 v58, v62, v58
	v_add_f32_e32 v14, v58, v14
	v_mul_f32_e32 v56, 0x3d64c772, v56
	v_mov_b32_e32 v62, v14
	v_fma_f32 v127, v119, s4, -v11
	v_fmac_f32_e32 v11, 0x3f4a47b2, v120
	v_add_f32_e32 v79, v57, v61
	v_sub_f32_e32 v81, v61, v57
	v_sub_f32_e32 v57, v57, v53
	v_fmac_f32_e32 v62, 0xbf955555, v58
	v_fma_f32 v58, v73, s4, -v56
	v_fmac_f32_e32 v56, 0x3f4a47b2, v52
	v_mul_f32_e32 v52, 0x3f4a47b2, v52
	v_mul_f32_e32 v120, 0x3f4a47b2, v120
	v_sub_f32_e32 v61, v53, v61
	v_add_f32_e32 v53, v53, v79
	v_mul_f32_e32 v79, 0x3f08b237, v81
	v_fma_f32 v52, v73, s6, -v52
	v_mul_f32_e32 v73, 0xbf5ff5aa, v57
	v_fma_f32 v119, v119, s6, -v120
	;; [unrolled: 2-line block ×3, first 2 shown]
	v_fmac_f32_e32 v79, 0xbeae86e6, v61
	v_fma_f32 v61, v61, s7, -v73
	v_fma_f32 v135, v123, s5, -v124
	v_fma_f32 v120, v121, s7, -v120
	v_fmac_f32_e32 v124, 0xbeae86e6, v121
	v_add_f32_e32 v136, v11, v126
	v_add_f32_e32 v11, v56, v62
	;; [unrolled: 1-line block ×4, first 2 shown]
	v_fmac_f32_e32 v79, 0xbee1c552, v53
	v_fmac_f32_e32 v57, 0xbee1c552, v53
	;; [unrolled: 1-line block ×3, first 2 shown]
	v_lshl_add_u32 v103, v106, 2, 0
	v_add_f32_e32 v121, v127, v126
	v_add_f32_e32 v119, v119, v126
	v_fmac_f32_e32 v135, 0xbee1c552, v122
	v_fmac_f32_e32 v120, 0xbee1c552, v122
	v_sub_f32_e32 v78, v94, v86
	v_add_f32_e32 v94, v59, v93
	v_sub_f32_e32 v76, v102, v76
	v_sub_f32_e32 v72, v100, v72
	v_fmac_f32_e32 v124, 0xbee1c552, v122
	v_add_f32_e32 v53, v11, v79
	v_sub_f32_e32 v58, v56, v57
	v_add_f32_e32 v56, v56, v57
	v_add_f32_e32 v57, v52, v61
	v_sub_f32_e32 v52, v52, v61
	v_sub_f32_e32 v11, v11, v79
	v_mad_u32_u24 v137, v106, 28, 0
	v_mad_i32_i24 v73, v107, 28, 0
	v_mad_i32_i24 v93, v108, 28, 0
	;; [unrolled: 1-line block ×6, first 2 shown]
	v_add_u32_e32 v99, 0x400, v103
	v_add_u32_e32 v86, 0x800, v103
	;; [unrolled: 1-line block ×8, first 2 shown]
	s_movk_i32 s8, 0xffe8
	v_sub_f32_e32 v122, v119, v120
	v_add_f32_e32 v123, v135, v121
	v_sub_f32_e32 v121, v121, v135
	v_add_f32_e32 v119, v120, v119
	v_add_f32_e32 v134, v89, v97
	v_sub_f32_e32 v59, v90, v84
	ds_write2_b32 v137, v0, v18 offset1:1
	ds_write2_b32 v137, v19, v20 offset0:2 offset1:3
	ds_write2_b32 v137, v21, v22 offset0:4 offset1:5
	ds_write_b32 v137, v23 offset:24
	ds_write2_b32 v73, v3, v25 offset1:1
	ds_write2_b32 v73, v32, v33 offset0:2 offset1:3
	ds_write2_b32 v73, v27, v24 offset0:4 offset1:5
	ds_write_b32 v73, v26 offset:24
	;; [unrolled: 4-line block ×7, first 2 shown]
	s_waitcnt lgkmcnt(0)
	; wave barrier
	s_waitcnt lgkmcnt(0)
	ds_read2_b32 v[52:53], v99 offset0:87 offset1:136
	ds_read2_b32 v[42:43], v86 offset0:125 offset1:174
	;; [unrolled: 1-line block ×6, first 2 shown]
	v_lshl_add_u32 v97, v107, 2, 0
	ds_read2_b32 v[54:55], v100 offset0:95 offset1:144
	ds_read2_b32 v[38:39], v98 offset0:141 offset1:190
	;; [unrolled: 1-line block ×3, first 2 shown]
	v_lshl_add_u32 v89, v108, 2, 0
	v_add_u32_e32 v90, 0x1c00, v103
	v_lshl_add_u32 v81, v109, 2, 0
	v_add_u32_e32 v82, 0xc00, v103
	v_add_u32_e32 v83, 0x1600, v103
	v_lshl_add_u32 v84, v110, 2, 0
	v_lshl_add_u32 v85, v111, 2, 0
	v_add_u32_e32 v62, 0x2200, v103
	v_mad_i32_i24 v58, v112, s8, v79
	ds_read_b32 v157, v103
	ds_read_b32 v14, v97
	;; [unrolled: 1-line block ×7, first 2 shown]
	ds_read2_b32 v[56:57], v99 offset0:185 offset1:234
	ds_read2_b32 v[44:45], v105 offset0:103 offset1:152
	;; [unrolled: 1-line block ×12, first 2 shown]
	s_waitcnt lgkmcnt(0)
	; wave barrier
	s_waitcnt lgkmcnt(0)
	ds_write2_b32 v137, v121, v119 offset0:4 offset1:5
	v_add_f32_e32 v119, v124, v136
	ds_write_b32 v137, v119 offset:24
	v_add_f32_e32 v119, v130, v131
	v_add_f32_e32 v119, v119, v133
	;; [unrolled: 1-line block ×3, first 2 shown]
	v_sub_f32_e32 v138, v136, v124
	ds_write2_b32 v137, v122, v123 offset0:2 offset1:3
	v_sub_f32_e32 v122, v133, v131
	v_sub_f32_e32 v124, v132, v129
	v_mov_b32_e32 v127, v4
	ds_write2_b32 v137, v125, v138 offset1:1
	v_sub_f32_e32 v120, v131, v130
	v_sub_f32_e32 v121, v130, v133
	v_add_f32_e32 v123, v129, v132
	v_sub_f32_e32 v125, v128, v132
	v_sub_f32_e32 v126, v129, v128
	v_fmac_f32_e32 v127, 0xbf955555, v119
	v_mul_f32_e32 v119, 0x3d64c772, v122
	v_mul_f32_e32 v124, 0x3f08b237, v124
	v_add_f32_e32 v123, v128, v123
	v_fma_f32 v122, v120, s4, -v119
	v_fmac_f32_e32 v119, 0x3f4a47b2, v121
	v_fma_f32 v128, v126, s5, -v124
	v_fmac_f32_e32 v124, 0xbeae86e6, v125
	v_add_f32_e32 v119, v119, v127
	v_fmac_f32_e32 v124, 0xbee1c552, v123
	v_sub_f32_e32 v129, v119, v124
	ds_write2_b32 v73, v4, v129 offset1:1
	v_mul_f32_e32 v4, 0x3f4a47b2, v121
	v_fma_f32 v4, v120, s6, -v4
	v_mul_f32_e32 v120, 0xbf5ff5aa, v126
	v_fma_f32 v120, v125, s7, -v120
	v_add_f32_e32 v121, v122, v127
	v_add_f32_e32 v4, v4, v127
	v_fmac_f32_e32 v128, 0xbee1c552, v123
	v_fmac_f32_e32 v120, 0xbee1c552, v123
	v_add_f32_e32 v122, v128, v121
	v_sub_f32_e32 v123, v4, v120
	v_sub_f32_e32 v121, v121, v128
	v_add_f32_e32 v4, v120, v4
	ds_write2_b32 v73, v121, v4 offset0:4 offset1:5
	v_add_f32_e32 v4, v124, v119
	v_add_f32_e32 v119, v114, v115
	v_sub_f32_e32 v120, v115, v114
	v_sub_f32_e32 v114, v114, v117
	;; [unrolled: 1-line block ×3, first 2 shown]
	v_add_f32_e32 v117, v119, v117
	v_add_f32_e32 v119, v113, v116
	;; [unrolled: 1-line block ×3, first 2 shown]
	v_sub_f32_e32 v121, v116, v113
	v_sub_f32_e32 v116, v60, v116
	;; [unrolled: 1-line block ×3, first 2 shown]
	v_add_f32_e32 v60, v60, v119
	v_mov_b32_e32 v119, v2
	v_mul_f32_e32 v115, 0x3d64c772, v115
	v_fmac_f32_e32 v119, 0xbf955555, v117
	v_fma_f32 v117, v120, s4, -v115
	v_fmac_f32_e32 v115, 0x3f4a47b2, v114
	v_mul_f32_e32 v114, 0x3f4a47b2, v114
	v_fma_f32 v114, v120, s6, -v114
	v_mul_f32_e32 v120, 0x3f08b237, v121
	v_mul_f32_e32 v121, 0xbf5ff5aa, v113
	v_fma_f32 v113, v113, s5, -v120
	v_fmac_f32_e32 v120, 0xbeae86e6, v116
	v_fma_f32 v116, v116, s7, -v121
	v_add_f32_e32 v115, v115, v119
	v_add_f32_e32 v117, v117, v119
	;; [unrolled: 1-line block ×3, first 2 shown]
	v_fmac_f32_e32 v120, 0xbee1c552, v60
	v_fmac_f32_e32 v113, 0xbee1c552, v60
	;; [unrolled: 1-line block ×3, first 2 shown]
	v_add_f32_e32 v119, v118, v71
	v_add_f32_e32 v60, v113, v117
	v_sub_f32_e32 v113, v117, v113
	v_sub_f32_e32 v117, v114, v116
	v_add_f32_e32 v114, v116, v114
	v_sub_f32_e32 v116, v115, v120
	v_add_f32_e32 v115, v120, v115
	v_sub_f32_e32 v120, v71, v118
	v_sub_f32_e32 v118, v118, v69
	;; [unrolled: 1-line block ×3, first 2 shown]
	v_add_f32_e32 v69, v119, v69
	v_add_f32_e32 v119, v68, v64
	;; [unrolled: 1-line block ×3, first 2 shown]
	v_sub_f32_e32 v121, v64, v68
	v_sub_f32_e32 v64, v70, v64
	;; [unrolled: 1-line block ×3, first 2 shown]
	v_add_f32_e32 v70, v70, v119
	v_mov_b32_e32 v119, v6
	v_fmac_f32_e32 v119, 0xbf955555, v69
	v_mul_f32_e32 v69, 0x3d64c772, v71
	v_fma_f32 v71, v120, s4, -v69
	v_fmac_f32_e32 v69, 0x3f4a47b2, v118
	v_mul_f32_e32 v118, 0x3f4a47b2, v118
	v_fma_f32 v118, v120, s6, -v118
	v_mul_f32_e32 v120, 0x3f08b237, v121
	v_mul_f32_e32 v121, 0xbf5ff5aa, v68
	v_fma_f32 v68, v68, s5, -v120
	v_fmac_f32_e32 v120, 0xbeae86e6, v64
	v_fma_f32 v64, v64, s7, -v121
	v_add_f32_e32 v69, v69, v119
	v_add_f32_e32 v71, v71, v119
	;; [unrolled: 1-line block ×3, first 2 shown]
	v_fmac_f32_e32 v120, 0xbee1c552, v70
	v_fmac_f32_e32 v68, 0xbee1c552, v70
	;; [unrolled: 1-line block ×3, first 2 shown]
	v_add_f32_e32 v119, v80, v67
	v_add_f32_e32 v70, v68, v71
	v_sub_f32_e32 v68, v71, v68
	v_sub_f32_e32 v71, v118, v64
	v_add_f32_e32 v64, v64, v118
	v_sub_f32_e32 v118, v69, v120
	v_add_f32_e32 v69, v120, v69
	v_sub_f32_e32 v120, v67, v80
	v_sub_f32_e32 v80, v80, v74
	;; [unrolled: 1-line block ×3, first 2 shown]
	v_add_f32_e32 v74, v119, v74
	v_add_f32_e32 v119, v66, v63
	;; [unrolled: 1-line block ×3, first 2 shown]
	v_sub_f32_e32 v121, v63, v66
	v_sub_f32_e32 v63, v65, v63
	v_sub_f32_e32 v66, v66, v65
	v_add_f32_e32 v65, v65, v119
	v_mov_b32_e32 v119, v8
	v_mul_f32_e32 v67, 0x3d64c772, v67
	v_fmac_f32_e32 v119, 0xbf955555, v74
	v_fma_f32 v74, v120, s4, -v67
	v_fmac_f32_e32 v67, 0x3f4a47b2, v80
	v_mul_f32_e32 v80, 0x3f4a47b2, v80
	v_fma_f32 v80, v120, s6, -v80
	v_mul_f32_e32 v120, 0x3f08b237, v121
	v_mul_f32_e32 v121, 0xbf5ff5aa, v66
	v_fma_f32 v66, v66, s5, -v120
	v_fmac_f32_e32 v120, 0xbeae86e6, v63
	v_fma_f32 v63, v63, s7, -v121
	v_add_f32_e32 v67, v67, v119
	v_add_f32_e32 v74, v74, v119
	;; [unrolled: 1-line block ×3, first 2 shown]
	v_fmac_f32_e32 v120, 0xbee1c552, v65
	v_fmac_f32_e32 v66, 0xbee1c552, v65
	;; [unrolled: 1-line block ×3, first 2 shown]
	v_add_f32_e32 v119, v134, v88
	v_add_f32_e32 v65, v66, v74
	v_sub_f32_e32 v66, v74, v66
	v_sub_f32_e32 v74, v80, v63
	v_add_f32_e32 v63, v63, v80
	v_sub_f32_e32 v80, v67, v120
	v_add_f32_e32 v67, v120, v67
	v_sub_f32_e32 v120, v88, v134
	v_sub_f32_e32 v121, v134, v94
	;; [unrolled: 1-line block ×3, first 2 shown]
	v_add_f32_e32 v94, v119, v94
	v_add_f32_e32 v119, v78, v87
	;; [unrolled: 1-line block ×3, first 2 shown]
	ds_write2_b32 v73, v123, v122 offset0:2 offset1:3
	v_sub_f32_e32 v122, v87, v78
	v_sub_f32_e32 v87, v75, v87
	;; [unrolled: 1-line block ×3, first 2 shown]
	v_add_f32_e32 v75, v75, v119
	v_mov_b32_e32 v119, v10
	v_mul_f32_e32 v88, 0x3d64c772, v88
	v_fmac_f32_e32 v119, 0xbf955555, v94
	v_fma_f32 v94, v120, s4, -v88
	v_fmac_f32_e32 v88, 0x3f4a47b2, v121
	v_mul_f32_e32 v121, 0x3f4a47b2, v121
	v_fma_f32 v120, v120, s6, -v121
	v_mul_f32_e32 v121, 0x3f08b237, v122
	v_mul_f32_e32 v122, 0xbf5ff5aa, v78
	v_fma_f32 v78, v78, s5, -v121
	v_fmac_f32_e32 v121, 0xbeae86e6, v87
	v_fma_f32 v87, v87, s7, -v122
	v_add_f32_e32 v88, v88, v119
	v_add_f32_e32 v94, v94, v119
	;; [unrolled: 1-line block ×3, first 2 shown]
	v_fmac_f32_e32 v121, 0xbee1c552, v75
	v_fmac_f32_e32 v78, 0xbee1c552, v75
	;; [unrolled: 1-line block ×3, first 2 shown]
	v_add_f32_e32 v120, v92, v91
	v_add_f32_e32 v75, v78, v94
	v_sub_f32_e32 v78, v94, v78
	v_sub_f32_e32 v94, v119, v87
	v_add_f32_e32 v87, v87, v119
	v_sub_f32_e32 v119, v88, v121
	v_add_f32_e32 v88, v121, v88
	v_sub_f32_e32 v121, v91, v92
	v_sub_f32_e32 v92, v92, v77
	;; [unrolled: 1-line block ×3, first 2 shown]
	v_add_f32_e32 v77, v120, v77
	v_add_f32_e32 v120, v76, v72
	;; [unrolled: 1-line block ×3, first 2 shown]
	v_sub_f32_e32 v122, v72, v76
	v_sub_f32_e32 v72, v59, v72
	;; [unrolled: 1-line block ×3, first 2 shown]
	v_add_f32_e32 v59, v59, v120
	v_mov_b32_e32 v120, v15
	v_fmac_f32_e32 v120, 0xbf955555, v77
	v_mul_f32_e32 v77, 0x3d64c772, v91
	v_fma_f32 v91, v121, s4, -v77
	v_fmac_f32_e32 v77, 0x3f4a47b2, v92
	v_mul_f32_e32 v92, 0x3f4a47b2, v92
	v_fma_f32 v92, v121, s6, -v92
	v_mul_f32_e32 v121, 0x3f08b237, v122
	v_mul_f32_e32 v122, 0xbf5ff5aa, v76
	v_fma_f32 v76, v76, s5, -v121
	v_fmac_f32_e32 v121, 0xbeae86e6, v72
	v_fma_f32 v72, v72, s7, -v122
	v_add_f32_e32 v77, v77, v120
	v_add_f32_e32 v91, v91, v120
	;; [unrolled: 1-line block ×3, first 2 shown]
	v_fmac_f32_e32 v121, 0xbee1c552, v59
	v_fmac_f32_e32 v76, 0xbee1c552, v59
	;; [unrolled: 1-line block ×3, first 2 shown]
	v_add_f32_e32 v59, v76, v91
	v_sub_f32_e32 v76, v91, v76
	v_sub_f32_e32 v91, v92, v72
	v_add_f32_e32 v72, v72, v92
	v_sub_f32_e32 v92, v77, v121
	v_add_f32_e32 v77, v121, v77
	ds_write_b32 v73, v4 offset:24
	ds_write2_b32 v93, v2, v116 offset1:1
	ds_write2_b32 v93, v117, v60 offset0:2 offset1:3
	ds_write2_b32 v93, v113, v114 offset0:4 offset1:5
	ds_write_b32 v93, v115 offset:24
	ds_write2_b32 v96, v6, v118 offset1:1
	ds_write2_b32 v96, v71, v70 offset0:2 offset1:3
	ds_write2_b32 v96, v68, v64 offset0:4 offset1:5
	ds_write_b32 v96, v69 offset:24
	ds_write2_b32 v101, v8, v80 offset1:1
	ds_write2_b32 v101, v74, v65 offset0:2 offset1:3
	ds_write2_b32 v101, v66, v63 offset0:4 offset1:5
	ds_write_b32 v101, v67 offset:24
	ds_write2_b32 v102, v10, v119 offset1:1
	ds_write2_b32 v102, v94, v75 offset0:2 offset1:3
	ds_write2_b32 v102, v78, v87 offset0:4 offset1:5
	ds_write_b32 v102, v88 offset:24
	ds_write2_b32 v79, v15, v92 offset1:1
	ds_write2_b32 v79, v91, v59 offset0:2 offset1:3
	ds_write2_b32 v79, v76, v72 offset0:4 offset1:5
	ds_write_b32 v79, v77 offset:24
	v_mov_b32_e32 v2, 37
	v_mul_lo_u16_sdwa v4, v106, v2 dst_sel:DWORD dst_unused:UNUSED_PAD src0_sel:BYTE_0 src1_sel:DWORD
	v_sub_u16_sdwa v6, v106, v4 dst_sel:DWORD dst_unused:UNUSED_PAD src0_sel:DWORD src1_sel:BYTE_1
	v_lshrrev_b16_e32 v6, 1, v6
	v_and_b32_e32 v6, 0x7f, v6
	v_add_u16_sdwa v4, v6, v4 dst_sel:DWORD dst_unused:UNUSED_PAD src0_sel:DWORD src1_sel:BYTE_1
	v_lshrrev_b16_e32 v144, 2, v4
	v_mul_lo_u16_e32 v4, 7, v144
	v_sub_u16_e32 v145, v106, v4
	v_mov_b32_e32 v59, 6
	v_mul_u32_u24_sdwa v4, v145, v59 dst_sel:DWORD dst_unused:UNUSED_PAD src0_sel:BYTE_0 src1_sel:DWORD
	v_lshlrev_b32_e32 v71, 3, v4
	v_mul_lo_u16_sdwa v4, v107, v2 dst_sel:DWORD dst_unused:UNUSED_PAD src0_sel:BYTE_0 src1_sel:DWORD
	v_sub_u16_sdwa v6, v107, v4 dst_sel:DWORD dst_unused:UNUSED_PAD src0_sel:DWORD src1_sel:BYTE_1
	v_lshrrev_b16_e32 v6, 1, v6
	v_and_b32_e32 v6, 0x7f, v6
	v_add_u16_sdwa v4, v6, v4 dst_sel:DWORD dst_unused:UNUSED_PAD src0_sel:DWORD src1_sel:BYTE_1
	v_lshrrev_b16_e32 v139, 2, v4
	v_mul_lo_u16_e32 v4, 7, v139
	v_sub_u16_e32 v140, v107, v4
	v_mul_u32_u24_sdwa v4, v140, v59 dst_sel:DWORD dst_unused:UNUSED_PAD src0_sel:BYTE_0 src1_sel:DWORD
	v_lshlrev_b32_e32 v80, 3, v4
	v_mul_lo_u16_sdwa v4, v108, v2 dst_sel:DWORD dst_unused:UNUSED_PAD src0_sel:BYTE_0 src1_sel:DWORD
	v_sub_u16_sdwa v6, v108, v4 dst_sel:DWORD dst_unused:UNUSED_PAD src0_sel:DWORD src1_sel:BYTE_1
	v_lshrrev_b16_e32 v6, 1, v6
	v_and_b32_e32 v6, 0x7f, v6
	v_add_u16_sdwa v4, v6, v4 dst_sel:DWORD dst_unused:UNUSED_PAD src0_sel:DWORD src1_sel:BYTE_1
	v_lshrrev_b16_e32 v10, 2, v4
	v_mul_lo_u16_e32 v4, 7, v10
	v_sub_u16_e32 v15, v108, v4
	v_mul_u32_u24_sdwa v4, v15, v59 dst_sel:DWORD dst_unused:UNUSED_PAD src0_sel:BYTE_0 src1_sel:DWORD
	v_lshlrev_b32_e32 v87, 3, v4
	v_mul_lo_u16_sdwa v4, v109, v2 dst_sel:DWORD dst_unused:UNUSED_PAD src0_sel:BYTE_0 src1_sel:DWORD
	v_sub_u16_sdwa v6, v109, v4 dst_sel:DWORD dst_unused:UNUSED_PAD src0_sel:DWORD src1_sel:BYTE_1
	v_lshrrev_b16_e32 v6, 1, v6
	v_and_b32_e32 v6, 0x7f, v6
	v_add_u16_sdwa v4, v6, v4 dst_sel:DWORD dst_unused:UNUSED_PAD src0_sel:DWORD src1_sel:BYTE_1
	s_waitcnt lgkmcnt(0)
	; wave barrier
	s_waitcnt lgkmcnt(0)
	global_load_dwordx4 v[63:66], v71, s[12:13]
	global_load_dwordx4 v[67:70], v80, s[12:13]
	v_lshrrev_b16_e32 v6, 2, v4
	v_mul_lo_u16_e32 v4, 7, v6
	v_sub_u16_e32 v8, v109, v4
	v_mul_u32_u24_sdwa v4, v8, v59 dst_sel:DWORD dst_unused:UNUSED_PAD src0_sel:BYTE_0 src1_sel:DWORD
	v_mul_lo_u16_sdwa v2, v110, v2 dst_sel:DWORD dst_unused:UNUSED_PAD src0_sel:BYTE_0 src1_sel:DWORD
	v_lshlrev_b32_e32 v88, 3, v4
	v_sub_u16_sdwa v4, v110, v2 dst_sel:DWORD dst_unused:UNUSED_PAD src0_sel:DWORD src1_sel:BYTE_1
	v_lshrrev_b16_e32 v4, 1, v4
	v_and_b32_e32 v4, 0x7f, v4
	v_add_u16_sdwa v2, v4, v2 dst_sel:DWORD dst_unused:UNUSED_PAD src0_sel:DWORD src1_sel:BYTE_1
	v_lshrrev_b16_e32 v2, 2, v2
	v_mul_lo_u16_e32 v4, 7, v2
	v_sub_u16_e32 v4, v110, v4
	global_load_dwordx4 v[73:76], v87, s[12:13]
	global_load_dwordx4 v[91:94], v88, s[12:13]
	v_mul_u32_u24_sdwa v59, v4, v59 dst_sel:DWORD dst_unused:UNUSED_PAD src0_sel:BYTE_0 src1_sel:DWORD
	s_movk_i32 s8, 0x2493
	v_lshlrev_b32_e32 v96, 3, v59
	v_mul_u32_u24_sdwa v59, v111, s8 dst_sel:DWORD dst_unused:UNUSED_PAD src0_sel:WORD_0 src1_sel:DWORD
	v_sub_u16_sdwa v60, v111, v59 dst_sel:DWORD dst_unused:UNUSED_PAD src0_sel:DWORD src1_sel:WORD_1
	v_lshrrev_b16_e32 v60, 1, v60
	v_add_u16_sdwa v59, v60, v59 dst_sel:DWORD dst_unused:UNUSED_PAD src0_sel:DWORD src1_sel:WORD_1
	v_lshrrev_b16_e32 v143, 2, v59
	v_mul_lo_u16_e32 v59, 7, v143
	v_sub_u16_e32 v148, v111, v59
	global_load_dwordx4 v[113:116], v96, s[12:13]
	v_mul_u32_u24_e32 v59, 6, v148
	v_lshlrev_b32_e32 v101, 3, v59
	global_load_dwordx4 v[117:120], v101, s[12:13]
	v_mul_u32_u24_sdwa v59, v112, s8 dst_sel:DWORD dst_unused:UNUSED_PAD src0_sel:WORD_0 src1_sel:DWORD
	v_sub_u16_sdwa v60, v112, v59 dst_sel:DWORD dst_unused:UNUSED_PAD src0_sel:DWORD src1_sel:WORD_1
	v_lshrrev_b16_e32 v60, 1, v60
	v_add_u16_sdwa v59, v60, v59 dst_sel:DWORD dst_unused:UNUSED_PAD src0_sel:DWORD src1_sel:WORD_1
	v_lshrrev_b16_e32 v150, 2, v59
	v_mul_lo_u16_e32 v59, 7, v150
	v_sub_u16_e32 v151, v112, v59
	v_mul_u32_u24_e32 v59, 6, v151
	v_lshlrev_b32_e32 v102, 3, v59
	global_load_dwordx4 v[121:124], v102, s[12:13]
	global_load_dwordx4 v[125:128], v71, s[12:13] offset:16
	ds_read2_b32 v[59:60], v99 offset0:87 offset1:136
	ds_read2_b32 v[77:78], v86 offset0:125 offset1:174
	global_load_dwordx4 v[129:132], v80, s[12:13] offset:16
	global_load_dwordx4 v[133:136], v71, s[12:13] offset:32
	;; [unrolled: 1-line block ×10, first 2 shown]
	v_mul_u32_u24_e32 v2, 0xc4, v2
	s_movk_i32 s8, 0x4f
	s_waitcnt vmcnt(17) lgkmcnt(1)
	v_mul_f32_e32 v149, v59, v64
	v_fmac_f32_e32 v149, v52, v63
	v_mul_f32_e32 v52, v52, v64
	v_fma_f32 v152, v59, v63, -v52
	ds_read2_b32 v[63:64], v100 offset0:95 offset1:144
	s_waitcnt vmcnt(16)
	v_mul_f32_e32 v141, v60, v68
	v_fmac_f32_e32 v141, v53, v67
	v_mul_f32_e32 v53, v53, v68
	v_fma_f32 v146, v60, v67, -v53
	s_waitcnt lgkmcnt(0)
	v_mul_f32_e32 v142, v63, v70
	v_mul_f32_e32 v53, v54, v70
	v_fmac_f32_e32 v142, v54, v69
	v_fma_f32 v147, v63, v69, -v53
	ds_read2_b32 v[53:54], v99 offset0:185 offset1:234
	v_mul_f32_e32 v52, v78, v66
	s_waitcnt vmcnt(15)
	v_mul_f32_e32 v72, v64, v76
	v_fmac_f32_e32 v72, v55, v75
	v_mul_f32_e32 v55, v55, v76
	v_fmac_f32_e32 v52, v43, v65
	v_mul_f32_e32 v43, v43, v66
	v_fma_f32 v75, v64, v75, -v55
	s_waitcnt lgkmcnt(0)
	v_mul_f32_e32 v76, v53, v74
	v_mul_f32_e32 v55, v56, v74
	v_fma_f32 v43, v78, v65, -v43
	v_fmac_f32_e32 v76, v56, v73
	v_fma_f32 v78, v53, v73, -v55
	ds_read2_b32 v[55:56], v82 offset0:65 offset1:114
	ds_read2_b32 v[59:60], v86 offset0:27 offset1:76
	s_waitcnt vmcnt(14)
	v_mul_f32_e32 v67, v54, v92
	v_fmac_f32_e32 v67, v57, v91
	v_mul_f32_e32 v53, v57, v92
	s_waitcnt lgkmcnt(1)
	v_mul_f32_e32 v68, v55, v94
	s_waitcnt vmcnt(13) lgkmcnt(0)
	v_mul_f32_e32 v63, v59, v114
	v_fmac_f32_e32 v68, v50, v93
	v_mul_f32_e32 v50, v50, v94
	v_fmac_f32_e32 v63, v48, v113
	v_mul_f32_e32 v48, v48, v114
	v_mul_f32_e32 v64, v56, v116
	v_fma_f32 v71, v55, v93, -v50
	v_fma_f32 v65, v59, v113, -v48
	v_fmac_f32_e32 v64, v51, v115
	v_mul_f32_e32 v48, v51, v116
	ds_read2_b32 v[50:51], v82 offset0:163 offset1:212
	v_fma_f32 v66, v56, v115, -v48
	s_waitcnt vmcnt(12)
	v_mul_f32_e32 v56, v60, v118
	v_mul_f32_e32 v48, v49, v118
	v_fmac_f32_e32 v56, v49, v117
	v_fma_f32 v59, v60, v117, -v48
	s_waitcnt lgkmcnt(0)
	v_mul_f32_e32 v57, v50, v120
	ds_read2_b32 v[48:49], v105 offset0:5 offset1:54
	v_fmac_f32_e32 v57, v46, v119
	v_mul_f32_e32 v46, v46, v120
	v_fma_f32 v60, v50, v119, -v46
	s_waitcnt vmcnt(11)
	v_mul_f32_e32 v50, v77, v122
	v_fmac_f32_e32 v50, v42, v121
	v_mul_f32_e32 v42, v42, v122
	v_fma_f32 v69, v54, v91, -v53
	v_fma_f32 v54, v77, v121, -v42
	global_load_dwordx4 v[119:122], v80, s[12:13] offset:32
	v_mul_f32_e32 v42, v47, v124
	v_fma_f32 v55, v51, v123, -v42
	ds_read2_b32 v[73:74], v98 offset0:43 offset1:92
	s_waitcnt vmcnt(11) lgkmcnt(1)
	v_mul_f32_e32 v42, v48, v126
	v_mul_f32_e32 v53, v51, v124
	v_fmac_f32_e32 v42, v36, v125
	v_mul_f32_e32 v36, v36, v126
	v_fmac_f32_e32 v53, v47, v123
	v_fma_f32 v36, v48, v125, -v36
	ds_read2_b32 v[47:48], v98 offset0:141 offset1:190
	s_waitcnt lgkmcnt(1)
	v_mul_f32_e32 v46, v74, v128
	s_waitcnt vmcnt(10)
	v_mul_f32_e32 v153, v49, v130
	v_fmac_f32_e32 v46, v27, v127
	v_mul_f32_e32 v27, v27, v128
	v_fmac_f32_e32 v153, v37, v129
	v_mul_f32_e32 v37, v37, v130
	v_fma_f32 v27, v74, v127, -v27
	v_fma_f32 v154, v49, v129, -v37
	global_load_dwordx4 v[127:130], v88, s[12:13] offset:32
	s_waitcnt lgkmcnt(0)
	v_mul_f32_e32 v155, v47, v132
	v_mul_f32_e32 v37, v38, v132
	s_waitcnt vmcnt(9)
	v_mul_f32_e32 v123, v48, v161
	v_fmac_f32_e32 v155, v38, v131
	v_fma_f32 v156, v47, v131, -v37
	ds_read2_b32 v[37:38], v105 offset0:103 offset1:152
	v_fmac_f32_e32 v123, v39, v160
	v_mul_f32_e32 v39, v39, v161
	v_fma_f32 v125, v48, v160, -v39
	ds_read2_b32 v[47:48], v83 offset0:111 offset1:160
	v_mul_f32_e32 v39, v44, v159
	s_waitcnt lgkmcnt(1)
	v_mul_f32_e32 v124, v37, v159
	v_fma_f32 v126, v37, v158, -v39
	s_waitcnt vmcnt(8)
	v_mul_f32_e32 v37, v45, v163
	v_fma_f32 v116, v38, v162, -v37
	s_waitcnt lgkmcnt(0)
	v_mul_f32_e32 v117, v47, v165
	v_mul_f32_e32 v37, v40, v165
	;; [unrolled: 1-line block ×3, first 2 shown]
	v_fmac_f32_e32 v117, v40, v164
	v_fma_f32 v118, v47, v164, -v37
	global_load_dwordx4 v[37:40], v102, s[12:13] offset:32
	v_fmac_f32_e32 v124, v44, v158
	v_fmac_f32_e32 v114, v45, v162
	ds_read2_b32 v[44:45], v105 offset0:201 offset1:250
	s_waitcnt vmcnt(7)
	v_mul_f32_e32 v92, v48, v169
	v_fmac_f32_e32 v92, v41, v168
	v_mul_f32_e32 v41, v41, v169
	v_fma_f32 v96, v48, v168, -v41
	s_waitcnt lgkmcnt(0)
	v_mul_f32_e32 v94, v44, v167
	v_fmac_f32_e32 v94, v34, v166
	v_mul_f32_e32 v34, v34, v167
	v_fma_f32 v113, v44, v166, -v34
	s_waitcnt vmcnt(6)
	v_mul_f32_e32 v80, v45, v175
	v_mul_f32_e32 v34, v35, v175
	ds_read2_b32 v[47:48], v104 offset0:81 offset1:130
	v_fmac_f32_e32 v80, v35, v174
	v_fma_f32 v87, v45, v174, -v34
	ds_read2_b32 v[34:35], v104 offset0:179 offset1:228
	s_waitcnt vmcnt(4)
	v_mul_f32_e32 v70, v73, v179
	v_fmac_f32_e32 v70, v26, v178
	v_mul_f32_e32 v26, v26, v179
	v_fma_f32 v73, v73, v178, -v26
	v_mul_f32_e32 v26, v33, v181
	s_waitcnt lgkmcnt(1)
	v_fma_f32 v77, v48, v180, -v26
	s_waitcnt lgkmcnt(0)
	v_mul_f32_e32 v26, v34, v134
	v_mul_f32_e32 v74, v48, v181
	ds_read2_b32 v[44:45], v61 offset0:89 offset1:138
	v_fmac_f32_e32 v26, v18, v133
	v_mul_f32_e32 v18, v18, v134
	v_fmac_f32_e32 v74, v33, v180
	v_fma_f32 v18, v34, v133, -v18
	ds_read2_b32 v[33:34], v95 offset0:59 offset1:108
	v_mul_f32_e32 v88, v47, v177
	v_fmac_f32_e32 v88, v32, v176
	v_mul_f32_e32 v32, v32, v177
	v_fma_f32 v91, v47, v176, -v32
	s_waitcnt lgkmcnt(1)
	v_mul_f32_e32 v32, v45, v136
	v_fmac_f32_e32 v32, v1, v135
	v_mul_f32_e32 v1, v1, v136
	v_fma_f32 v1, v45, v135, -v1
	s_waitcnt vmcnt(2)
	v_mul_f32_e32 v158, v35, v120
	v_fmac_f32_e32 v158, v19, v119
	v_mul_f32_e32 v19, v19, v120
	v_fma_f32 v159, v35, v119, -v19
	s_waitcnt lgkmcnt(0)
	v_mul_f32_e32 v160, v33, v122
	v_mul_f32_e32 v19, v20, v122
	v_fmac_f32_e32 v160, v20, v121
	v_fma_f32 v161, v33, v121, -v19
	ds_read2_b32 v[19:20], v90 offset0:21 offset1:70
	v_mul_f32_e32 v135, v34, v173
	v_fmac_f32_e32 v135, v21, v172
	v_mul_f32_e32 v21, v21, v173
	v_fma_f32 v137, v34, v172, -v21
	ds_read2_b32 v[33:34], v95 offset0:157 offset1:206
	v_mul_f32_e32 v21, v30, v171
	s_waitcnt lgkmcnt(1)
	v_mul_f32_e32 v136, v19, v171
	v_fma_f32 v138, v19, v170, -v21
	v_mul_f32_e32 v21, v29, v185
	v_fmac_f32_e32 v136, v30, v170
	s_waitcnt vmcnt(1)
	v_mul_f32_e32 v19, v31, v128
	v_fma_f32 v132, v20, v127, -v19
	v_mul_f32_e32 v19, v28, v130
	v_mul_f32_e32 v131, v20, v128
	s_waitcnt lgkmcnt(0)
	v_fma_f32 v134, v33, v129, -v19
	ds_read2_b32 v[19:20], v90 offset0:119 offset1:168
	v_fmac_f32_e32 v131, v31, v127
	v_mul_f32_e32 v133, v33, v130
	v_mul_f32_e32 v127, v34, v185
	v_fmac_f32_e32 v133, v28, v129
	v_fmac_f32_e32 v127, v29, v184
	ds_read2_b32 v[28:29], v62 offset0:127 offset1:176
	v_fma_f32 v129, v34, v184, -v21
	v_mul_f32_e32 v21, v24, v183
	s_waitcnt lgkmcnt(1)
	v_mul_f32_e32 v128, v19, v183
	v_fma_f32 v130, v19, v182, -v21
	v_mul_f32_e32 v19, v25, v187
	v_fma_f32 v120, v20, v186, -v19
	v_mul_f32_e32 v19, v22, v189
	v_mul_f32_e32 v119, v20, v187
	s_waitcnt lgkmcnt(0)
	v_mul_f32_e32 v121, v28, v189
	s_waitcnt vmcnt(0)
	v_mul_f32_e32 v93, v44, v38
	v_fma_f32 v122, v28, v188, -v19
	v_fmac_f32_e32 v93, v0, v37
	v_mul_f32_e32 v0, v0, v38
	v_add_f32_e32 v19, v149, v32
	v_add_f32_e32 v20, v52, v26
	v_fmac_f32_e32 v121, v22, v188
	v_fma_f32 v101, v44, v37, -v0
	v_mul_f32_e32 v102, v29, v40
	v_mul_f32_e32 v0, v23, v40
	v_add_f32_e32 v21, v42, v46
	v_add_f32_e32 v22, v20, v19
	v_fmac_f32_e32 v102, v23, v39
	v_fma_f32 v115, v29, v39, -v0
	v_sub_f32_e32 v0, v20, v19
	v_sub_f32_e32 v23, v19, v21
	;; [unrolled: 1-line block ×3, first 2 shown]
	v_add_f32_e32 v29, v21, v22
	v_sub_f32_e32 v22, v43, v18
	v_sub_f32_e32 v20, v27, v36
	v_fmac_f32_e32 v128, v24, v182
	v_sub_f32_e32 v21, v152, v1
	v_add_f32_e32 v24, v20, v22
	v_sub_f32_e32 v28, v20, v22
	v_sub_f32_e32 v20, v21, v20
	;; [unrolled: 1-line block ×3, first 2 shown]
	v_add_f32_e32 v21, v24, v21
	v_add_f32_e32 v24, v157, v29
	v_fmac_f32_e32 v119, v25, v186
	v_mov_b32_e32 v25, v24
	v_mov_b32_e32 v30, 2
	v_fmac_f32_e32 v25, 0xbf955555, v29
	v_mul_u32_u24_e32 v29, 0xc4, v144
	v_lshlrev_b32_sdwa v31, v30, v145 dst_sel:DWORD dst_unused:UNUSED_PAD src0_sel:DWORD src1_sel:BYTE_0
	v_mul_f32_e32 v23, 0x3f4a47b2, v23
	v_add3_u32 v166, 0, v29, v31
	v_fma_f32 v29, v0, s6, -v23
	v_fmac_f32_e32 v23, 0x3d64c772, v19
	v_mul_f32_e32 v19, 0x3d64c772, v19
	v_mul_f32_e32 v28, 0x3f08b237, v28
	v_fma_f32 v0, v0, s4, -v19
	v_mul_f32_e32 v19, 0xbf5ff5aa, v22
	v_fma_f32 v31, v22, s5, -v28
	v_fma_f32 v19, v20, s7, -v19
	v_fmac_f32_e32 v28, 0xbeae86e6, v20
	v_add_f32_e32 v0, v0, v25
	v_add_f32_e32 v20, v29, v25
	v_fmac_f32_e32 v31, 0xbee1c552, v21
	v_fmac_f32_e32 v19, 0xbee1c552, v21
	;; [unrolled: 1-line block ×3, first 2 shown]
	v_add_f32_e32 v21, v19, v20
	v_sub_f32_e32 v22, v0, v31
	v_add_f32_e32 v0, v31, v0
	v_sub_f32_e32 v19, v20, v19
	v_add_f32_e32 v23, v23, v25
	ds_read_b32 v33, v103
	ds_read_b32 v167, v97
	;; [unrolled: 1-line block ×7, first 2 shown]
	s_waitcnt lgkmcnt(0)
	; wave barrier
	s_waitcnt lgkmcnt(0)
	ds_write2_b32 v166, v0, v19 offset0:28 offset1:35
	v_add_f32_e32 v19, v141, v160
	v_add_f32_e32 v20, v142, v158
	;; [unrolled: 1-line block ×3, first 2 shown]
	ds_write2_b32 v166, v21, v22 offset0:14 offset1:21
	v_add_f32_e32 v21, v153, v155
	v_add_f32_e32 v22, v20, v19
	ds_write2_b32 v166, v24, v34 offset1:7
	v_sub_f32_e32 v0, v23, v28
	v_sub_f32_e32 v23, v20, v19
	;; [unrolled: 1-line block ×4, first 2 shown]
	v_add_f32_e32 v21, v21, v22
	v_sub_f32_e32 v24, v147, v159
	v_sub_f32_e32 v25, v156, v154
	v_sub_f32_e32 v22, v146, v161
	v_add_f32_e32 v28, v25, v24
	v_add_f32_e32 v14, v14, v21
	v_sub_f32_e32 v29, v25, v24
	v_sub_f32_e32 v25, v22, v25
	;; [unrolled: 1-line block ×3, first 2 shown]
	v_add_f32_e32 v22, v28, v22
	v_mov_b32_e32 v28, v14
	v_fmac_f32_e32 v28, 0xbf955555, v21
	ds_write_b32 v166, v0 offset:168
	v_mul_u32_u24_e32 v0, 0xc4, v139
	v_lshlrev_b32_sdwa v21, v30, v140 dst_sel:DWORD dst_unused:UNUSED_PAD src0_sel:DWORD src1_sel:BYTE_0
	v_add3_u32 v165, 0, v0, v21
	v_mul_f32_e32 v0, 0x3f4a47b2, v19
	v_mul_f32_e32 v19, 0x3f08b237, v29
	v_fma_f32 v21, v23, s6, -v0
	v_fmac_f32_e32 v0, 0x3d64c772, v20
	v_fma_f32 v29, v24, s5, -v19
	v_fmac_f32_e32 v19, 0xbeae86e6, v25
	v_add_f32_e32 v0, v0, v28
	v_fmac_f32_e32 v19, 0xbee1c552, v22
	v_add_f32_e32 v31, v19, v0
	ds_write2_b32 v165, v14, v31 offset1:7
	v_mul_f32_e32 v14, 0x3d64c772, v20
	v_mul_f32_e32 v20, 0xbf5ff5aa, v24
	v_fma_f32 v14, v23, s4, -v14
	v_fma_f32 v20, v25, s7, -v20
	v_add_f32_e32 v14, v14, v28
	v_add_f32_e32 v21, v21, v28
	v_fmac_f32_e32 v29, 0xbee1c552, v22
	v_fmac_f32_e32 v20, 0xbee1c552, v22
	v_add_f32_e32 v22, v20, v21
	v_sub_f32_e32 v23, v14, v29
	v_add_f32_e32 v14, v29, v14
	v_sub_f32_e32 v20, v21, v20
	ds_write2_b32 v165, v14, v20 offset0:28 offset1:35
	v_sub_f32_e32 v0, v0, v19
	v_add_f32_e32 v14, v76, v135
	v_add_f32_e32 v19, v72, v136
	;; [unrolled: 1-line block ×4, first 2 shown]
	ds_write2_b32 v165, v22, v23 offset0:14 offset1:21
	v_sub_f32_e32 v22, v19, v14
	v_sub_f32_e32 v14, v14, v20
	;; [unrolled: 1-line block ×3, first 2 shown]
	v_add_f32_e32 v20, v20, v21
	v_sub_f32_e32 v23, v75, v138
	v_sub_f32_e32 v24, v125, v126
	;; [unrolled: 1-line block ×3, first 2 shown]
	v_add_f32_e32 v25, v24, v23
	v_sub_f32_e32 v28, v24, v23
	v_add_f32_e32 v11, v11, v20
	ds_write_b32 v165, v0 offset:168
	v_mul_u32_u24_e32 v0, 0xc4, v10
	v_lshlrev_b32_sdwa v10, v30, v15 dst_sel:DWORD dst_unused:UNUSED_PAD src0_sel:DWORD src1_sel:BYTE_0
	v_sub_f32_e32 v24, v21, v24
	v_sub_f32_e32 v23, v23, v21
	v_add_f32_e32 v21, v25, v21
	v_mov_b32_e32 v25, v11
	v_add3_u32 v139, 0, v0, v10
	v_mul_f32_e32 v0, 0x3f4a47b2, v14
	v_mul_f32_e32 v10, 0x3f08b237, v28
	v_fmac_f32_e32 v25, 0xbf955555, v20
	v_fma_f32 v14, v22, s6, -v0
	v_fmac_f32_e32 v0, 0x3d64c772, v19
	v_fma_f32 v15, v23, s5, -v10
	v_fmac_f32_e32 v10, 0xbeae86e6, v24
	v_add_f32_e32 v0, v0, v25
	v_fmac_f32_e32 v10, 0xbee1c552, v21
	v_add_f32_e32 v20, v10, v0
	ds_write2_b32 v139, v11, v20 offset1:7
	v_mul_f32_e32 v11, 0x3d64c772, v19
	v_mul_f32_e32 v19, 0xbf5ff5aa, v23
	v_fma_f32 v11, v22, s4, -v11
	v_fma_f32 v19, v24, s7, -v19
	v_add_f32_e32 v11, v11, v25
	v_add_f32_e32 v14, v14, v25
	v_fmac_f32_e32 v15, 0xbee1c552, v21
	v_fmac_f32_e32 v19, 0xbee1c552, v21
	v_add_f32_e32 v20, v19, v14
	v_sub_f32_e32 v21, v11, v15
	v_add_f32_e32 v11, v15, v11
	v_sub_f32_e32 v14, v14, v19
	ds_write2_b32 v139, v11, v14 offset0:28 offset1:35
	v_sub_f32_e32 v0, v0, v10
	v_add_f32_e32 v10, v67, v133
	v_add_f32_e32 v11, v68, v131
	;; [unrolled: 1-line block ×4, first 2 shown]
	ds_write2_b32 v139, v20, v21 offset0:14 offset1:21
	v_sub_f32_e32 v19, v11, v10
	v_sub_f32_e32 v10, v10, v14
	;; [unrolled: 1-line block ×3, first 2 shown]
	v_add_f32_e32 v14, v14, v15
	v_sub_f32_e32 v20, v71, v132
	v_sub_f32_e32 v21, v118, v116
	;; [unrolled: 1-line block ×3, first 2 shown]
	v_add_f32_e32 v22, v21, v20
	v_sub_f32_e32 v23, v21, v20
	v_add_f32_e32 v9, v9, v14
	ds_write_b32 v139, v0 offset:168
	v_mul_u32_u24_e32 v0, 0xc4, v6
	v_lshlrev_b32_sdwa v6, v30, v8 dst_sel:DWORD dst_unused:UNUSED_PAD src0_sel:DWORD src1_sel:BYTE_0
	v_sub_f32_e32 v21, v15, v21
	v_sub_f32_e32 v20, v20, v15
	v_add_f32_e32 v15, v22, v15
	v_mov_b32_e32 v22, v9
	v_add3_u32 v140, 0, v0, v6
	v_mul_f32_e32 v0, 0x3f4a47b2, v10
	v_mul_f32_e32 v6, 0x3f08b237, v23
	v_fmac_f32_e32 v22, 0xbf955555, v14
	v_fma_f32 v8, v19, s6, -v0
	v_fmac_f32_e32 v0, 0x3d64c772, v11
	v_fma_f32 v10, v20, s5, -v6
	v_fmac_f32_e32 v6, 0xbeae86e6, v21
	v_add_f32_e32 v0, v0, v22
	v_fmac_f32_e32 v6, 0xbee1c552, v15
	v_add_f32_e32 v14, v6, v0
	ds_write2_b32 v140, v9, v14 offset1:7
	v_mul_f32_e32 v9, 0x3d64c772, v11
	v_mul_f32_e32 v11, 0xbf5ff5aa, v20
	v_fma_f32 v9, v19, s4, -v9
	v_fma_f32 v11, v21, s7, -v11
	v_add_f32_e32 v9, v9, v22
	v_add_f32_e32 v8, v8, v22
	v_fmac_f32_e32 v10, 0xbee1c552, v15
	v_fmac_f32_e32 v11, 0xbee1c552, v15
	v_add_f32_e32 v14, v11, v8
	v_sub_f32_e32 v15, v9, v10
	v_add_f32_e32 v9, v10, v9
	v_sub_f32_e32 v8, v8, v11
	ds_write2_b32 v140, v9, v8 offset0:28 offset1:35
	v_sub_f32_e32 v0, v0, v6
	v_add_f32_e32 v6, v63, v127
	v_add_f32_e32 v8, v64, v128
	;; [unrolled: 1-line block ×4, first 2 shown]
	ds_write2_b32 v140, v14, v15 offset0:14 offset1:21
	v_sub_f32_e32 v11, v8, v6
	v_sub_f32_e32 v6, v6, v9
	;; [unrolled: 1-line block ×3, first 2 shown]
	v_add_f32_e32 v9, v9, v10
	v_sub_f32_e32 v14, v66, v130
	v_sub_f32_e32 v15, v96, v113
	;; [unrolled: 1-line block ×3, first 2 shown]
	v_add_f32_e32 v19, v15, v14
	v_sub_f32_e32 v20, v15, v14
	v_add_f32_e32 v7, v7, v9
	ds_write_b32 v140, v0 offset:168
	v_lshlrev_b32_sdwa v0, v30, v4 dst_sel:DWORD dst_unused:UNUSED_PAD src0_sel:DWORD src1_sel:BYTE_0
	v_sub_f32_e32 v15, v10, v15
	v_sub_f32_e32 v14, v14, v10
	v_add_f32_e32 v10, v19, v10
	v_mov_b32_e32 v19, v7
	v_add3_u32 v163, 0, v2, v0
	v_mul_f32_e32 v0, 0x3f4a47b2, v6
	v_mul_f32_e32 v2, 0x3f08b237, v20
	v_fmac_f32_e32 v19, 0xbf955555, v9
	v_fma_f32 v4, v11, s6, -v0
	v_fmac_f32_e32 v0, 0x3d64c772, v8
	v_fma_f32 v6, v14, s5, -v2
	v_fmac_f32_e32 v2, 0xbeae86e6, v15
	v_add_f32_e32 v0, v0, v19
	v_fmac_f32_e32 v2, 0xbee1c552, v10
	v_add_f32_e32 v9, v2, v0
	ds_write2_b32 v163, v7, v9 offset1:7
	v_mul_f32_e32 v7, 0x3d64c772, v8
	v_mul_f32_e32 v8, 0xbf5ff5aa, v14
	v_fma_f32 v7, v11, s4, -v7
	v_fma_f32 v8, v15, s7, -v8
	v_add_f32_e32 v7, v7, v19
	v_add_f32_e32 v4, v4, v19
	v_fmac_f32_e32 v6, 0xbee1c552, v10
	v_fmac_f32_e32 v8, 0xbee1c552, v10
	v_add_f32_e32 v9, v8, v4
	v_sub_f32_e32 v10, v7, v6
	v_add_f32_e32 v6, v6, v7
	v_sub_f32_e32 v4, v4, v8
	ds_write2_b32 v163, v6, v4 offset0:28 offset1:35
	v_sub_f32_e32 v0, v0, v2
	v_add_f32_e32 v2, v56, v121
	v_add_f32_e32 v4, v57, v119
	;; [unrolled: 1-line block ×4, first 2 shown]
	ds_write2_b32 v163, v9, v10 offset0:14 offset1:21
	v_sub_f32_e32 v8, v4, v2
	v_sub_f32_e32 v2, v2, v6
	;; [unrolled: 1-line block ×3, first 2 shown]
	v_add_f32_e32 v6, v6, v7
	v_sub_f32_e32 v9, v60, v120
	v_sub_f32_e32 v10, v91, v87
	;; [unrolled: 1-line block ×3, first 2 shown]
	v_add_f32_e32 v11, v10, v9
	v_add_f32_e32 v5, v5, v6
	v_sub_f32_e32 v14, v10, v9
	v_sub_f32_e32 v10, v7, v10
	;; [unrolled: 1-line block ×3, first 2 shown]
	v_add_f32_e32 v7, v11, v7
	v_mov_b32_e32 v11, v5
	v_fmac_f32_e32 v11, 0xbf955555, v6
	ds_write_b32 v163, v0 offset:168
	v_mul_u32_u24_e32 v0, 0xc4, v143
	v_lshlrev_b32_e32 v6, 2, v148
	v_add_f32_e32 v78, v78, v137
	v_add_f32_e32 v75, v75, v138
	v_add3_u32 v143, 0, v0, v6
	v_mul_f32_e32 v0, 0x3f4a47b2, v2
	v_mul_f32_e32 v2, 0x3f08b237, v14
	v_sub_f32_e32 v72, v72, v136
	v_add_f32_e32 v125, v126, v125
	v_sub_f32_e32 v123, v123, v124
	v_add_f32_e32 v124, v75, v78
	v_fma_f32 v6, v8, s6, -v0
	v_fmac_f32_e32 v0, 0x3d64c772, v4
	v_fma_f32 v14, v9, s5, -v2
	v_fmac_f32_e32 v2, 0xbeae86e6, v10
	v_sub_f32_e32 v76, v76, v135
	v_sub_f32_e32 v126, v75, v78
	;; [unrolled: 1-line block ×4, first 2 shown]
	v_add_f32_e32 v124, v125, v124
	v_add_f32_e32 v125, v123, v72
	;; [unrolled: 1-line block ×3, first 2 shown]
	v_fmac_f32_e32 v2, 0xbee1c552, v7
	v_sub_f32_e32 v135, v123, v72
	v_sub_f32_e32 v123, v76, v123
	;; [unrolled: 1-line block ×3, first 2 shown]
	v_add_f32_e32 v76, v125, v76
	v_add_f32_e32 v125, v164, v124
	;; [unrolled: 1-line block ×3, first 2 shown]
	v_mov_b32_e32 v136, v125
	ds_write2_b32 v143, v5, v15 offset1:7
	v_mul_f32_e32 v4, 0x3d64c772, v4
	v_mul_f32_e32 v5, 0xbf5ff5aa, v9
	v_fmac_f32_e32 v136, 0xbf955555, v124
	v_mul_f32_e32 v78, 0x3f4a47b2, v78
	v_mul_f32_e32 v124, 0x3d64c772, v75
	v_fma_f32 v4, v8, s4, -v4
	v_fma_f32 v5, v10, s7, -v5
	;; [unrolled: 1-line block ×4, first 2 shown]
	v_fmac_f32_e32 v78, 0x3d64c772, v75
	v_mul_f32_e32 v75, 0x3f08b237, v135
	v_mul_f32_e32 v135, 0xbf5ff5aa, v72
	v_add_f32_e32 v4, v4, v11
	v_add_f32_e32 v6, v6, v11
	v_fmac_f32_e32 v14, 0xbee1c552, v7
	v_fmac_f32_e32 v5, 0xbee1c552, v7
	v_fma_f32 v72, v72, s5, -v75
	v_fmac_f32_e32 v75, 0xbeae86e6, v123
	v_fma_f32 v123, v123, s7, -v135
	v_add_f32_e32 v7, v5, v6
	v_sub_f32_e32 v8, v4, v14
	v_add_f32_e32 v4, v14, v4
	v_sub_f32_e32 v5, v6, v5
	v_add_f32_e32 v78, v78, v136
	v_add_f32_e32 v124, v124, v136
	;; [unrolled: 1-line block ×3, first 2 shown]
	v_fmac_f32_e32 v75, 0xbee1c552, v76
	v_fmac_f32_e32 v72, 0xbee1c552, v76
	;; [unrolled: 1-line block ×3, first 2 shown]
	v_add_f32_e32 v69, v69, v134
	v_add_f32_e32 v71, v71, v132
	ds_write2_b32 v143, v4, v5 offset0:28 offset1:35
	v_sub_f32_e32 v0, v0, v2
	v_add_f32_e32 v2, v50, v102
	v_add_f32_e32 v4, v53, v93
	v_add_f32_e32 v76, v72, v124
	v_sub_f32_e32 v72, v124, v72
	v_sub_f32_e32 v124, v126, v123
	v_add_f32_e32 v123, v123, v126
	v_sub_f32_e32 v126, v78, v75
	v_add_f32_e32 v75, v75, v78
	;; [unrolled: 2-line block ×4, first 2 shown]
	v_add_f32_e32 v5, v70, v74
	v_add_f32_e32 v6, v4, v2
	v_sub_f32_e32 v67, v67, v133
	v_sub_f32_e32 v117, v71, v69
	v_sub_f32_e32 v69, v69, v78
	v_sub_f32_e32 v71, v78, v71
	v_add_f32_e32 v78, v78, v116
	v_add_f32_e32 v116, v114, v68
	ds_write2_b32 v143, v7, v8 offset0:14 offset1:21
	v_sub_f32_e32 v7, v4, v2
	v_sub_f32_e32 v2, v2, v5
	;; [unrolled: 1-line block ×3, first 2 shown]
	v_add_f32_e32 v5, v5, v6
	v_sub_f32_e32 v8, v55, v101
	v_sub_f32_e32 v9, v77, v73
	;; [unrolled: 1-line block ×5, first 2 shown]
	v_add_f32_e32 v67, v116, v67
	v_add_f32_e32 v116, v162, v78
	v_sub_f32_e32 v6, v54, v115
	v_add_f32_e32 v10, v9, v8
	v_add_f32_e32 v3, v3, v5
	v_mov_b32_e32 v131, v116
	v_sub_f32_e32 v11, v9, v8
	v_sub_f32_e32 v9, v6, v9
	;; [unrolled: 1-line block ×3, first 2 shown]
	v_add_f32_e32 v6, v10, v6
	v_mov_b32_e32 v10, v3
	v_fmac_f32_e32 v131, 0xbf955555, v78
	v_mul_f32_e32 v69, 0x3f4a47b2, v69
	v_mul_f32_e32 v78, 0x3d64c772, v71
	v_fmac_f32_e32 v10, 0xbf955555, v5
	ds_write_b32 v143, v0 offset:168
	v_mul_u32_u24_e32 v0, 0xc4, v150
	v_lshlrev_b32_e32 v5, 2, v151
	v_fma_f32 v78, v117, s4, -v78
	v_fma_f32 v117, v117, s6, -v69
	v_fmac_f32_e32 v69, 0x3d64c772, v71
	v_mul_f32_e32 v71, 0x3f08b237, v118
	v_mul_f32_e32 v118, 0xbf5ff5aa, v68
	v_add3_u32 v150, 0, v0, v5
	v_mul_f32_e32 v0, 0x3f4a47b2, v2
	v_mul_f32_e32 v2, 0x3f08b237, v11
	v_fma_f32 v68, v68, s5, -v71
	v_fmac_f32_e32 v71, 0xbeae86e6, v114
	v_fma_f32 v114, v114, s7, -v118
	v_fma_f32 v5, v7, s6, -v0
	v_fmac_f32_e32 v0, 0x3d64c772, v4
	v_fma_f32 v11, v8, s5, -v2
	v_fmac_f32_e32 v2, 0xbeae86e6, v9
	v_add_f32_e32 v69, v69, v131
	v_add_f32_e32 v78, v78, v131
	;; [unrolled: 1-line block ×3, first 2 shown]
	v_fmac_f32_e32 v71, 0xbee1c552, v67
	v_fmac_f32_e32 v68, 0xbee1c552, v67
	v_fmac_f32_e32 v114, 0xbee1c552, v67
	v_add_f32_e32 v65, v65, v129
	v_add_f32_e32 v66, v66, v130
	;; [unrolled: 1-line block ×3, first 2 shown]
	v_fmac_f32_e32 v2, 0xbee1c552, v6
	v_add_f32_e32 v67, v68, v78
	v_sub_f32_e32 v68, v78, v68
	v_sub_f32_e32 v78, v117, v114
	v_add_f32_e32 v114, v114, v117
	v_sub_f32_e32 v117, v69, v71
	v_add_f32_e32 v69, v71, v69
	;; [unrolled: 2-line block ×4, first 2 shown]
	v_add_f32_e32 v14, v2, v0
	v_sub_f32_e32 v63, v63, v127
	v_sub_f32_e32 v96, v66, v65
	;; [unrolled: 1-line block ×4, first 2 shown]
	v_add_f32_e32 v71, v71, v94
	v_add_f32_e32 v94, v92, v64
	ds_write2_b32 v150, v3, v14 offset1:7
	v_mul_f32_e32 v3, 0x3d64c772, v4
	v_mul_f32_e32 v4, 0xbf5ff5aa, v8
	v_sub_f32_e32 v113, v92, v64
	v_sub_f32_e32 v92, v63, v92
	;; [unrolled: 1-line block ×3, first 2 shown]
	v_add_f32_e32 v63, v94, v63
	v_add_f32_e32 v94, v157, v71
	v_fma_f32 v3, v7, s4, -v3
	v_fma_f32 v4, v9, s7, -v4
	v_mov_b32_e32 v118, v94
	v_add_f32_e32 v3, v3, v10
	v_add_f32_e32 v5, v5, v10
	v_fmac_f32_e32 v11, 0xbee1c552, v6
	v_fmac_f32_e32 v4, 0xbee1c552, v6
	;; [unrolled: 1-line block ×3, first 2 shown]
	v_mul_f32_e32 v65, 0x3f4a47b2, v65
	v_mul_f32_e32 v71, 0x3d64c772, v66
	v_add_f32_e32 v6, v4, v5
	v_sub_f32_e32 v7, v3, v11
	v_add_f32_e32 v3, v11, v3
	v_sub_f32_e32 v4, v5, v4
	v_fma_f32 v71, v96, s4, -v71
	v_fma_f32 v96, v96, s6, -v65
	v_fmac_f32_e32 v65, 0x3d64c772, v66
	v_mul_f32_e32 v66, 0x3f08b237, v113
	v_mul_f32_e32 v113, 0xbf5ff5aa, v64
	ds_write2_b32 v150, v6, v7 offset0:14 offset1:21
	ds_write2_b32 v150, v3, v4 offset0:28 offset1:35
	v_add_f32_e32 v1, v152, v1
	v_add_f32_e32 v4, v43, v18
	v_add_f32_e32 v6, v36, v27
	v_fma_f32 v64, v64, s5, -v66
	v_fmac_f32_e32 v66, 0xbeae86e6, v92
	v_fma_f32 v92, v92, s7, -v113
	v_sub_f32_e32 v3, v149, v32
	v_add_f32_e32 v8, v4, v1
	v_sub_f32_e32 v149, v4, v1
	v_sub_f32_e32 v1, v1, v6
	v_sub_f32_e32 v0, v0, v2
	v_add_f32_e32 v65, v65, v118
	v_add_f32_e32 v71, v71, v118
	;; [unrolled: 1-line block ×3, first 2 shown]
	v_fmac_f32_e32 v66, 0xbee1c552, v63
	v_fmac_f32_e32 v64, 0xbee1c552, v63
	;; [unrolled: 1-line block ×3, first 2 shown]
	v_add_f32_e32 v59, v59, v122
	v_add_f32_e32 v60, v60, v120
	v_sub_f32_e32 v5, v52, v26
	v_sub_f32_e32 v7, v46, v42
	;; [unrolled: 1-line block ×3, first 2 shown]
	v_add_f32_e32 v4, v6, v8
	ds_write_b32 v150, v0 offset:168
	v_mul_f32_e32 v0, 0x3f4a47b2, v1
	v_add_f32_e32 v63, v64, v71
	v_sub_f32_e32 v64, v71, v64
	v_sub_f32_e32 v71, v96, v92
	v_add_f32_e32 v92, v92, v96
	v_sub_f32_e32 v96, v65, v66
	v_add_f32_e32 v65, v66, v65
	;; [unrolled: 2-line block ×4, first 2 shown]
	v_sub_f32_e32 v8, v7, v5
	v_sub_f32_e32 v168, v5, v3
	v_add_f32_e32 v170, v33, v4
	v_fma_f32 v173, v149, s6, -v0
	v_fmac_f32_e32 v0, 0x3d64c772, v151
	v_mul_f32_e32 v151, 0x3d64c772, v151
	v_sub_f32_e32 v56, v56, v121
	v_sub_f32_e32 v88, v60, v59
	;; [unrolled: 1-line block ×4, first 2 shown]
	v_add_f32_e32 v66, v66, v87
	v_add_f32_e32 v87, v80, v57
	;; [unrolled: 1-line block ×3, first 2 shown]
	v_sub_f32_e32 v152, v3, v7
	v_mov_b32_e32 v171, v170
	v_mul_f32_e32 v172, 0x3f08b237, v8
	v_fma_f32 v149, v149, s4, -v151
	v_mul_f32_e32 v151, 0xbf5ff5aa, v168
	v_sub_f32_e32 v91, v80, v57
	v_sub_f32_e32 v80, v56, v80
	;; [unrolled: 1-line block ×3, first 2 shown]
	v_add_f32_e32 v56, v87, v56
	v_add_f32_e32 v87, v145, v66
	;; [unrolled: 1-line block ×3, first 2 shown]
	v_fmac_f32_e32 v171, 0xbf955555, v4
	v_fma_f32 v174, v168, s5, -v172
	v_fma_f32 v151, v152, s7, -v151
	v_mov_b32_e32 v113, v87
	v_fmac_f32_e32 v172, 0xbeae86e6, v152
	v_add_f32_e32 v149, v149, v171
	v_add_f32_e32 v152, v173, v171
	v_fmac_f32_e32 v174, 0xbee1c552, v169
	v_fmac_f32_e32 v151, 0xbee1c552, v169
	;; [unrolled: 1-line block ×3, first 2 shown]
	v_mul_f32_e32 v59, 0x3f4a47b2, v59
	v_mul_f32_e32 v66, 0x3d64c772, v60
	v_add_f32_e32 v175, v0, v171
	v_fmac_f32_e32 v172, 0xbee1c552, v169
	v_sub_f32_e32 v168, v152, v151
	v_add_f32_e32 v169, v174, v149
	v_sub_f32_e32 v149, v149, v174
	v_add_f32_e32 v151, v151, v152
	v_fma_f32 v66, v88, s4, -v66
	v_fma_f32 v88, v88, s6, -v59
	v_fmac_f32_e32 v59, 0x3d64c772, v60
	v_mul_f32_e32 v60, 0x3f08b237, v91
	v_mul_f32_e32 v91, 0xbf5ff5aa, v57
	s_waitcnt lgkmcnt(0)
	; wave barrier
	s_waitcnt lgkmcnt(0)
	ds_read_b32 v148, v103
	ds_read_b32 v52, v97
	;; [unrolled: 1-line block ×7, first 2 shown]
	ds_read2_b32 v[44:45], v99 offset0:87 offset1:136
	ds_read2_b32 v[30:31], v86 offset0:125 offset1:174
	;; [unrolled: 1-line block ×21, first 2 shown]
	s_waitcnt lgkmcnt(0)
	; wave barrier
	s_waitcnt lgkmcnt(0)
	ds_write2_b32 v166, v149, v151 offset0:28 offset1:35
	v_add_f32_e32 v149, v172, v175
	v_add_f32_e32 v146, v146, v161
	;; [unrolled: 1-line block ×3, first 2 shown]
	v_fma_f32 v57, v57, s5, -v60
	v_fmac_f32_e32 v60, 0xbeae86e6, v80
	v_fma_f32 v80, v80, s7, -v91
	ds_write_b32 v166, v149 offset:168
	v_sub_f32_e32 v142, v142, v158
	v_add_f32_e32 v149, v154, v156
	v_sub_f32_e32 v151, v155, v153
	v_add_f32_e32 v152, v147, v146
	v_add_f32_e32 v59, v59, v113
	;; [unrolled: 1-line block ×4, first 2 shown]
	v_fmac_f32_e32 v60, 0xbee1c552, v56
	v_fmac_f32_e32 v57, 0xbee1c552, v56
	;; [unrolled: 1-line block ×3, first 2 shown]
	v_add_f32_e32 v54, v54, v115
	v_add_f32_e32 v55, v55, v101
	v_sub_f32_e32 v141, v141, v160
	v_sub_f32_e32 v153, v147, v146
	;; [unrolled: 1-line block ×4, first 2 shown]
	v_add_f32_e32 v149, v149, v152
	v_add_f32_e32 v152, v151, v142
	;; [unrolled: 1-line block ×3, first 2 shown]
	v_sub_f32_e32 v57, v66, v57
	v_sub_f32_e32 v66, v88, v80
	v_add_f32_e32 v80, v80, v88
	v_sub_f32_e32 v88, v59, v60
	v_add_f32_e32 v59, v60, v59
	;; [unrolled: 2-line block ×4, first 2 shown]
	v_sub_f32_e32 v154, v151, v142
	v_sub_f32_e32 v151, v141, v151
	;; [unrolled: 1-line block ×3, first 2 shown]
	v_add_f32_e32 v141, v152, v141
	v_add_f32_e32 v152, v167, v149
	v_sub_f32_e32 v50, v50, v102
	v_sub_f32_e32 v74, v55, v54
	;; [unrolled: 1-line block ×4, first 2 shown]
	v_add_f32_e32 v60, v60, v73
	v_add_f32_e32 v73, v70, v53
	v_mov_b32_e32 v155, v152
	v_mul_f32_e32 v146, 0x3f4a47b2, v146
	v_mul_f32_e32 v154, 0x3f08b237, v154
	v_sub_f32_e32 v77, v70, v53
	v_sub_f32_e32 v70, v50, v70
	;; [unrolled: 1-line block ×3, first 2 shown]
	v_add_f32_e32 v50, v73, v50
	v_add_f32_e32 v73, v144, v60
	v_fmac_f32_e32 v155, 0xbf955555, v149
	v_fma_f32 v149, v153, s6, -v146
	v_fmac_f32_e32 v146, 0x3d64c772, v147
	v_fma_f32 v156, v142, s5, -v154
	v_mul_f32_e32 v147, 0x3d64c772, v147
	v_mul_f32_e32 v142, 0xbf5ff5aa, v142
	v_mov_b32_e32 v91, v73
	v_fma_f32 v147, v153, s4, -v147
	v_fma_f32 v142, v151, s7, -v142
	v_fmac_f32_e32 v91, 0xbf955555, v60
	v_mul_f32_e32 v54, 0x3f4a47b2, v54
	v_mul_f32_e32 v60, 0x3d64c772, v55
	v_fmac_f32_e32 v154, 0xbeae86e6, v151
	v_add_f32_e32 v147, v147, v155
	v_add_f32_e32 v149, v149, v155
	v_fmac_f32_e32 v156, 0xbee1c552, v141
	v_fmac_f32_e32 v142, 0xbee1c552, v141
	v_fma_f32 v60, v74, s4, -v60
	v_fma_f32 v74, v74, s6, -v54
	v_fmac_f32_e32 v54, 0x3d64c772, v55
	v_mul_f32_e32 v55, 0x3f08b237, v77
	v_sub_f32_e32 v176, v175, v172
	v_fmac_f32_e32 v154, 0xbee1c552, v141
	v_add_f32_e32 v141, v156, v147
	v_sub_f32_e32 v151, v149, v142
	v_mul_f32_e32 v77, 0xbf5ff5aa, v53
	v_fma_f32 v53, v53, s5, -v55
	ds_write2_b32 v166, v170, v176 offset1:7
	ds_write2_b32 v166, v168, v169 offset0:14 offset1:21
	v_add_f32_e32 v146, v146, v155
	ds_write2_b32 v165, v151, v141 offset0:14 offset1:21
	v_sub_f32_e32 v141, v147, v156
	v_add_f32_e32 v142, v142, v149
	v_fmac_f32_e32 v55, 0xbeae86e6, v70
	v_fma_f32 v70, v70, s7, -v77
	v_add_f32_e32 v60, v60, v91
	v_fmac_f32_e32 v53, 0xbee1c552, v50
	v_sub_f32_e32 v158, v146, v154
	ds_write2_b32 v165, v141, v142 offset0:28 offset1:35
	v_add_f32_e32 v141, v154, v146
	v_add_f32_e32 v54, v54, v91
	;; [unrolled: 1-line block ×3, first 2 shown]
	v_fmac_f32_e32 v55, 0xbee1c552, v50
	v_fmac_f32_e32 v70, 0xbee1c552, v50
	v_add_f32_e32 v50, v53, v60
	v_sub_f32_e32 v53, v60, v53
	ds_write2_b32 v165, v152, v158 offset1:7
	ds_write_b32 v165, v141 offset:168
	v_sub_f32_e32 v60, v74, v70
	v_add_f32_e32 v70, v70, v74
	v_sub_f32_e32 v74, v54, v55
	v_add_f32_e32 v54, v55, v54
	ds_write2_b32 v139, v125, v126 offset1:7
	ds_write2_b32 v139, v124, v76 offset0:14 offset1:21
	ds_write2_b32 v139, v72, v123 offset0:28 offset1:35
	ds_write_b32 v139, v75 offset:168
	ds_write2_b32 v140, v116, v117 offset1:7
	ds_write2_b32 v140, v78, v67 offset0:14 offset1:21
	ds_write2_b32 v140, v68, v114 offset0:28 offset1:35
	ds_write_b32 v140, v69 offset:168
	;; [unrolled: 4-line block ×5, first 2 shown]
	v_mul_lo_u16_sdwa v53, v108, s8 dst_sel:DWORD dst_unused:UNUSED_PAD src0_sel:BYTE_0 src1_sel:DWORD
	v_sub_u16_sdwa v54, v108, v53 dst_sel:DWORD dst_unused:UNUSED_PAD src0_sel:DWORD src1_sel:BYTE_1
	v_lshrrev_b16_e32 v54, 1, v54
	v_and_b32_e32 v54, 0x7f, v54
	v_add_u16_sdwa v53, v54, v53 dst_sel:DWORD dst_unused:UNUSED_PAD src0_sel:DWORD src1_sel:BYTE_1
	v_lshrrev_b16_e32 v53, 5, v53
	v_mul_u32_u24_e32 v50, 6, v106
	v_mul_lo_u16_e32 v53, 49, v53
	v_lshlrev_b32_e32 v50, 3, v50
	v_sub_u16_e32 v53, v108, v53
	s_waitcnt lgkmcnt(0)
	; wave barrier
	s_waitcnt lgkmcnt(0)
	global_load_dwordx4 v[63:66], v50, s[12:13] offset:336
	global_load_dwordx4 v[67:70], v50, s[12:13] offset:352
	v_and_b32_e32 v54, 0xff, v53
	v_mul_u32_u24_e32 v53, 6, v54
	v_lshlrev_b32_e32 v96, 3, v53
	v_mul_lo_u16_sdwa v53, v109, s8 dst_sel:DWORD dst_unused:UNUSED_PAD src0_sel:BYTE_0 src1_sel:DWORD
	v_mul_lo_u16_sdwa v57, v110, s8 dst_sel:DWORD dst_unused:UNUSED_PAD src0_sel:BYTE_0 src1_sel:DWORD
	v_sub_u16_sdwa v55, v109, v53 dst_sel:DWORD dst_unused:UNUSED_PAD src0_sel:DWORD src1_sel:BYTE_1
	v_sub_u16_sdwa v59, v110, v57 dst_sel:DWORD dst_unused:UNUSED_PAD src0_sel:DWORD src1_sel:BYTE_1
	v_lshrrev_b16_e32 v55, 1, v55
	v_lshrrev_b16_e32 v59, 1, v59
	v_and_b32_e32 v55, 0x7f, v55
	v_and_b32_e32 v59, 0x7f, v59
	v_add_u16_sdwa v53, v55, v53 dst_sel:DWORD dst_unused:UNUSED_PAD src0_sel:DWORD src1_sel:BYTE_1
	v_add_u16_sdwa v57, v59, v57 dst_sel:DWORD dst_unused:UNUSED_PAD src0_sel:DWORD src1_sel:BYTE_1
	v_lshrrev_b16_e32 v53, 5, v53
	v_lshrrev_b16_e32 v57, 5, v57
	v_mul_lo_u16_e32 v53, 49, v53
	v_mul_lo_u16_e32 v57, 49, v57
	v_sub_u16_e32 v53, v109, v53
	v_sub_u16_e32 v57, v110, v57
	v_and_b32_e32 v53, 0xff, v53
	v_and_b32_e32 v57, 0xff, v57
	global_load_dwordx4 v[71:74], v96, s[12:13] offset:336
	v_mul_u32_u24_e32 v55, 6, v53
	v_mul_u32_u24_e32 v59, 6, v57
	s_movk_i32 s8, 0x4e5f
	v_lshlrev_b32_e32 v80, 3, v55
	v_lshlrev_b32_e32 v131, 3, v59
	v_mul_u32_u24_sdwa v59, v111, s8 dst_sel:DWORD dst_unused:UNUSED_PAD src0_sel:WORD_0 src1_sel:DWORD
	ds_read2_b32 v[55:56], v99 offset0:87 offset1:136
	ds_read2_b32 v[87:88], v86 offset0:125 offset1:174
	ds_read2_b32 v[75:76], v105 offset0:5 offset1:54
	global_load_dwordx4 v[91:94], v80, s[12:13] offset:336
	global_load_dwordx4 v[113:116], v131, s[12:13] offset:336
	v_sub_u16_sdwa v60, v111, v59 dst_sel:DWORD dst_unused:UNUSED_PAD src0_sel:DWORD src1_sel:WORD_1
	v_lshrrev_b16_e32 v60, 1, v60
	v_add_u16_sdwa v59, v60, v59 dst_sel:DWORD dst_unused:UNUSED_PAD src0_sel:DWORD src1_sel:WORD_1
	v_lshrrev_b16_e32 v59, 5, v59
	v_mul_lo_u16_e32 v59, 49, v59
	v_sub_u16_e32 v60, v111, v59
	v_mul_u32_u24_e32 v59, 6, v60
	v_lshlrev_b32_e32 v134, 3, v59
	global_load_dwordx4 v[117:120], v134, s[12:13] offset:336
	v_mul_u32_u24_sdwa v59, v112, s8 dst_sel:DWORD dst_unused:UNUSED_PAD src0_sel:WORD_0 src1_sel:DWORD
	v_sub_u16_sdwa v77, v112, v59 dst_sel:DWORD dst_unused:UNUSED_PAD src0_sel:DWORD src1_sel:WORD_1
	v_lshrrev_b16_e32 v77, 1, v77
	v_add_u16_sdwa v59, v77, v59 dst_sel:DWORD dst_unused:UNUSED_PAD src0_sel:DWORD src1_sel:WORD_1
	v_lshrrev_b16_e32 v59, 5, v59
	v_mul_lo_u16_e32 v59, 49, v59
	v_sub_u16_e32 v59, v112, v59
	v_mul_u32_u24_e32 v77, 6, v59
	v_lshlrev_b32_e32 v138, 3, v77
	global_load_dwordx4 v[121:124], v138, s[12:13] offset:336
	ds_read2_b32 v[101:102], v98 offset0:43 offset1:92
	ds_read2_b32 v[77:78], v100 offset0:95 offset1:144
	;; [unrolled: 1-line block ×3, first 2 shown]
	global_load_dwordx4 v[125:128], v96, s[12:13] offset:352
	global_load_dwordx4 v[169:172], v80, s[12:13] offset:368
	;; [unrolled: 1-line block ×9, first 2 shown]
	s_waitcnt vmcnt(15) lgkmcnt(5)
	v_mul_f32_e32 v132, v55, v64
	s_waitcnt lgkmcnt(4)
	v_mul_f32_e32 v133, v88, v66
	v_fmac_f32_e32 v132, v44, v63
	v_mul_f32_e32 v44, v44, v64
	v_fmac_f32_e32 v133, v31, v65
	v_mul_f32_e32 v31, v31, v66
	v_fma_f32 v135, v55, v63, -v44
	v_fma_f32 v136, v88, v65, -v31
	v_mul_f32_e32 v31, v56, v64
	v_mul_f32_e32 v44, v45, v64
	v_fmac_f32_e32 v31, v45, v63
	v_fma_f32 v45, v56, v63, -v44
	s_waitcnt lgkmcnt(1)
	v_mul_f32_e32 v44, v77, v66
	v_fmac_f32_e32 v44, v40, v65
	v_mul_f32_e32 v40, v40, v66
	v_fma_f32 v40, v77, v65, -v40
	global_load_dwordx4 v[63:66], v131, s[12:13] offset:352
	ds_read2_b32 v[55:56], v99 offset0:185 offset1:234
	s_waitcnt vmcnt(15)
	v_mul_f32_e32 v137, v75, v68
	v_fmac_f32_e32 v137, v42, v67
	v_mul_f32_e32 v42, v42, v68
	v_mul_f32_e32 v141, v102, v70
	v_fma_f32 v140, v75, v67, -v42
	s_waitcnt vmcnt(14) lgkmcnt(0)
	v_mul_f32_e32 v143, v55, v72
	v_fmac_f32_e32 v141, v19, v69
	v_mul_f32_e32 v19, v19, v70
	v_mul_f32_e32 v42, v43, v68
	v_fmac_f32_e32 v143, v38, v71
	v_mul_f32_e32 v38, v38, v72
	v_fma_f32 v145, v102, v69, -v19
	v_mul_f32_e32 v19, v76, v68
	v_fma_f32 v42, v76, v67, -v42
	v_fma_f32 v144, v55, v71, -v38
	s_waitcnt vmcnt(13)
	v_mul_f32_e32 v76, v56, v92
	v_mul_f32_e32 v38, v39, v92
	v_fmac_f32_e32 v19, v43, v67
	ds_read2_b32 v[67:68], v82 offset0:65 offset1:114
	v_fmac_f32_e32 v76, v39, v91
	v_fma_f32 v88, v56, v91, -v38
	ds_read2_b32 v[38:39], v86 offset0:27 offset1:76
	v_mul_f32_e32 v139, v78, v74
	v_fmac_f32_e32 v139, v41, v73
	v_mul_f32_e32 v41, v41, v74
	v_fma_f32 v142, v78, v73, -v41
	s_waitcnt lgkmcnt(1)
	v_mul_f32_e32 v77, v67, v94
	s_waitcnt vmcnt(12) lgkmcnt(0)
	v_mul_f32_e32 v78, v38, v114
	v_fmac_f32_e32 v77, v36, v93
	v_mul_f32_e32 v36, v36, v94
	v_fmac_f32_e32 v78, v34, v113
	v_mul_f32_e32 v34, v34, v114
	v_fma_f32 v93, v67, v93, -v36
	v_mul_f32_e32 v75, v68, v116
	v_mul_f32_e32 v36, v37, v116
	v_fma_f32 v94, v38, v113, -v34
	s_waitcnt vmcnt(11)
	v_mul_f32_e32 v71, v39, v118
	v_mul_f32_e32 v34, v35, v118
	v_fmac_f32_e32 v75, v37, v115
	v_fma_f32 v80, v68, v115, -v36
	v_fmac_f32_e32 v71, v35, v117
	v_fma_f32 v73, v39, v117, -v34
	global_load_dwordx4 v[34:37], v96, s[12:13] offset:368
	ds_read2_b32 v[67:68], v82 offset0:163 offset1:212
	v_mul_f32_e32 v43, v129, v70
	s_waitcnt vmcnt(11)
	v_mul_f32_e32 v55, v87, v122
	v_fmac_f32_e32 v43, v28, v69
	v_mul_f32_e32 v28, v28, v70
	s_waitcnt lgkmcnt(0)
	v_mul_f32_e32 v72, v67, v120
	v_fmac_f32_e32 v72, v32, v119
	v_mul_f32_e32 v32, v32, v120
	v_fmac_f32_e32 v55, v30, v121
	v_mul_f32_e32 v30, v30, v122
	v_mul_f32_e32 v56, v68, v124
	v_fma_f32 v28, v129, v69, -v28
	v_fma_f32 v74, v67, v119, -v32
	;; [unrolled: 1-line block ×3, first 2 shown]
	v_fmac_f32_e32 v56, v33, v123
	v_mul_f32_e32 v30, v33, v124
	ds_read2_b32 v[32:33], v105 offset0:103 offset1:152
	s_waitcnt vmcnt(10)
	v_mul_f32_e32 v149, v130, v128
	v_fmac_f32_e32 v149, v29, v127
	v_mul_f32_e32 v29, v29, v128
	v_fma_f32 v70, v68, v123, -v30
	v_fma_f32 v151, v130, v127, -v29
	ds_read2_b32 v[29:30], v83 offset0:111 offset1:160
	s_waitcnt lgkmcnt(1)
	v_mul_f32_e32 v150, v32, v126
	v_fmac_f32_e32 v150, v26, v125
	v_mul_f32_e32 v26, v26, v126
	v_fma_f32 v152, v32, v125, -v26
	s_waitcnt vmcnt(8)
	v_mul_f32_e32 v125, v33, v154
	v_mul_f32_e32 v26, v27, v154
	v_fmac_f32_e32 v125, v27, v153
	v_fma_f32 v126, v33, v153, -v26
	s_waitcnt lgkmcnt(0)
	v_mul_f32_e32 v127, v29, v156
	ds_read2_b32 v[26:27], v105 offset0:201 offset1:250
	v_fmac_f32_e32 v127, v24, v155
	v_mul_f32_e32 v24, v24, v156
	v_fma_f32 v128, v29, v155, -v24
	s_waitcnt vmcnt(1)
	v_mul_f32_e32 v121, v30, v66
	v_mul_f32_e32 v24, v25, v66
	v_fmac_f32_e32 v121, v25, v65
	v_fma_f32 v123, v30, v65, -v24
	ds_read2_b32 v[24:25], v104 offset0:81 offset1:130
	s_waitcnt lgkmcnt(1)
	v_mul_f32_e32 v122, v26, v64
	v_fmac_f32_e32 v122, v22, v63
	v_mul_f32_e32 v22, v22, v64
	v_fma_f32 v124, v26, v63, -v22
	v_mul_f32_e32 v117, v27, v158
	v_mul_f32_e32 v22, v23, v158
	;; [unrolled: 1-line block ×3, first 2 shown]
	v_fmac_f32_e32 v117, v23, v157
	v_fma_f32 v118, v27, v157, -v22
	s_waitcnt lgkmcnt(0)
	v_mul_f32_e32 v119, v24, v160
	v_fmac_f32_e32 v92, v18, v165
	v_mul_f32_e32 v18, v18, v166
	ds_read2_b32 v[22:23], v104 offset0:179 offset1:228
	v_fmac_f32_e32 v119, v20, v159
	v_mul_f32_e32 v20, v20, v160
	v_fma_f32 v102, v101, v165, -v18
	v_mul_f32_e32 v18, v21, v168
	v_fma_f32 v120, v24, v159, -v20
	;; [unrolled: 2-line block ×3, first 2 shown]
	ds_read2_b32 v[24:25], v61 offset0:89 offset1:138
	s_waitcnt lgkmcnt(1)
	v_mul_f32_e32 v157, v22, v162
	v_mul_f32_e32 v18, v23, v162
	v_fmac_f32_e32 v157, v14, v161
	v_fmac_f32_e32 v18, v15, v161
	v_mul_f32_e32 v14, v14, v162
	v_mul_f32_e32 v15, v15, v162
	v_fma_f32 v158, v22, v161, -v14
	v_fma_f32 v20, v23, v161, -v15
	ds_read2_b32 v[14:15], v95 offset0:59 offset1:108
	s_waitcnt lgkmcnt(1)
	v_mul_f32_e32 v159, v25, v164
	v_fmac_f32_e32 v159, v1, v163
	v_mul_f32_e32 v1, v1, v164
	v_fma_f32 v160, v25, v163, -v1
	ds_read2_b32 v[25:26], v90 offset0:21 offset1:70
	v_mul_f32_e32 v1, v10, v164
	s_waitcnt lgkmcnt(1)
	v_fma_f32 v22, v14, v163, -v1
	v_fmac_f32_e32 v115, v21, v167
	s_waitcnt vmcnt(0)
	v_mul_f32_e32 v1, v11, v37
	v_mul_f32_e32 v21, v14, v164
	;; [unrolled: 1-line block ×3, first 2 shown]
	v_fma_f32 v155, v15, v36, -v1
	v_mul_f32_e32 v1, v8, v35
	v_fmac_f32_e32 v21, v10, v163
	v_fmac_f32_e32 v153, v11, v36
	s_waitcnt lgkmcnt(0)
	v_fma_f32 v156, v25, v34, -v1
	ds_read2_b32 v[10:11], v95 offset0:157 offset1:206
	v_mul_f32_e32 v1, v9, v170
	v_mul_f32_e32 v154, v25, v35
	;; [unrolled: 1-line block ×3, first 2 shown]
	v_fma_f32 v130, v26, v169, -v1
	ds_read2_b32 v[25:26], v90 offset0:119 offset1:168
	v_mul_f32_e32 v1, v6, v172
	ds_read2_b32 v[29:30], v62 offset0:127 offset1:176
	s_waitcnt lgkmcnt(2)
	v_fma_f32 v134, v10, v171, -v1
	v_mul_f32_e32 v1, v7, v180
	v_fmac_f32_e32 v15, v9, v169
	v_mul_f32_e32 v131, v10, v172
	v_fma_f32 v10, v11, v179, -v1
	s_waitcnt lgkmcnt(1)
	v_mul_f32_e32 v9, v25, v178
	v_mul_f32_e32 v1, v4, v178
	v_fmac_f32_e32 v154, v8, v34
	v_mul_f32_e32 v8, v11, v180
	v_fmac_f32_e32 v9, v4, v177
	v_fma_f32 v11, v25, v177, -v1
	v_mul_f32_e32 v4, v26, v174
	v_mul_f32_e32 v1, v5, v174
	v_fmac_f32_e32 v4, v5, v173
	v_fma_f32 v5, v26, v173, -v1
	v_mul_f32_e32 v1, v2, v176
	v_fmac_f32_e32 v131, v6, v171
	v_fmac_f32_e32 v8, v7, v179
	s_waitcnt lgkmcnt(0)
	v_mul_f32_e32 v6, v29, v176
	v_fma_f32 v7, v29, v175, -v1
	v_mul_f32_e32 v1, v24, v182
	v_add_f32_e32 v14, v132, v159
	v_add_f32_e32 v23, v133, v157
	v_fmac_f32_e32 v6, v2, v175
	v_fmac_f32_e32 v1, v0, v181
	v_mul_f32_e32 v0, v0, v182
	v_mul_f32_e32 v2, v30, v184
	v_add_f32_e32 v26, v137, v141
	v_add_f32_e32 v27, v23, v14
	v_fma_f32 v0, v24, v181, -v0
	v_fmac_f32_e32 v2, v3, v183
	v_mul_f32_e32 v3, v3, v184
	v_sub_f32_e32 v24, v23, v14
	v_sub_f32_e32 v14, v14, v26
	;; [unrolled: 1-line block ×3, first 2 shown]
	v_add_f32_e32 v23, v26, v27
	v_sub_f32_e32 v29, v136, v158
	v_sub_f32_e32 v26, v145, v140
	v_fma_f32 v3, v30, v183, -v3
	v_sub_f32_e32 v27, v135, v160
	v_add_f32_e32 v30, v26, v29
	v_sub_f32_e32 v34, v26, v29
	v_mul_f32_e32 v14, 0x3f4a47b2, v14
	v_sub_f32_e32 v26, v27, v26
	v_sub_f32_e32 v29, v29, v27
	v_add_f32_e32 v27, v30, v27
	v_add_f32_e32 v32, v148, v23
	v_mul_f32_e32 v30, 0x3f08b237, v34
	v_fma_f32 v34, v24, s6, -v14
	v_fmac_f32_e32 v14, 0x3d64c772, v25
	v_mul_f32_e32 v25, 0x3d64c772, v25
	v_mov_b32_e32 v33, v32
	v_fma_f32 v24, v24, s4, -v25
	v_mul_f32_e32 v25, 0xbf5ff5aa, v29
	v_fmac_f32_e32 v33, 0xbf955555, v23
	v_fma_f32 v35, v29, s5, -v30
	v_fma_f32 v25, v26, s7, -v25
	v_fmac_f32_e32 v30, 0xbeae86e6, v26
	v_add_f32_e32 v24, v24, v33
	v_add_f32_e32 v26, v34, v33
	v_fmac_f32_e32 v35, 0xbee1c552, v27
	v_fmac_f32_e32 v25, 0xbee1c552, v27
	v_add_f32_e32 v36, v14, v33
	v_fmac_f32_e32 v30, 0xbee1c552, v27
	v_add_f32_e32 v27, v25, v26
	v_sub_f32_e32 v29, v24, v35
	v_add_f32_e32 v24, v35, v24
	v_sub_f32_e32 v25, v26, v25
	ds_read_b32 v161, v103
	ds_read_b32 v23, v97
	;; [unrolled: 1-line block ×7, first 2 shown]
	s_waitcnt lgkmcnt(0)
	; wave barrier
	s_waitcnt lgkmcnt(0)
	v_add_f32_e32 v37, v30, v36
	ds_write2_b32 v103, v24, v25 offset0:196 offset1:245
	v_add_f32_e32 v25, v31, v21
	v_add_f32_e32 v26, v44, v18
	ds_write2_b32 v103, v32, v37 offset1:49
	ds_write2_b32 v103, v27, v29 offset0:98 offset1:147
	v_add_f32_e32 v27, v19, v43
	v_add_f32_e32 v29, v26, v25
	v_sub_f32_e32 v32, v40, v20
	v_sub_f32_e32 v33, v28, v42
	;; [unrolled: 1-line block ×6, first 2 shown]
	v_add_f32_e32 v27, v27, v29
	v_sub_f32_e32 v29, v45, v22
	v_add_f32_e32 v34, v33, v32
	v_sub_f32_e32 v35, v33, v32
	v_sub_f32_e32 v33, v29, v33
	;; [unrolled: 1-line block ×3, first 2 shown]
	v_add_f32_e32 v29, v34, v29
	v_add_f32_e32 v34, v52, v27
	ds_write2_b32 v99, v24, v34 offset0:38 offset1:87
	v_fmac_f32_e32 v34, 0xbf955555, v27
	v_mul_f32_e32 v24, 0x3f08b237, v35
	v_mul_f32_e32 v27, 0xbf5ff5aa, v32
	;; [unrolled: 1-line block ×3, first 2 shown]
	v_fma_f32 v32, v32, s5, -v24
	v_fmac_f32_e32 v24, 0xbeae86e6, v33
	v_fma_f32 v27, v33, s7, -v27
	v_fma_f32 v33, v30, s6, -v25
	v_fmac_f32_e32 v25, 0x3d64c772, v26
	v_mul_f32_e32 v26, 0x3d64c772, v26
	v_fma_f32 v26, v30, s4, -v26
	v_add_f32_e32 v26, v26, v34
	v_fmac_f32_e32 v32, 0xbee1c552, v29
	v_add_f32_e32 v25, v25, v34
	v_add_f32_e32 v33, v33, v34
	v_fmac_f32_e32 v24, 0xbee1c552, v29
	v_fmac_f32_e32 v27, 0xbee1c552, v29
	v_sub_f32_e32 v29, v26, v32
	v_add_f32_e32 v26, v32, v26
	v_add_u32_e32 v171, 0x600, v103
	v_add_f32_e32 v35, v24, v25
	ds_write2_b32 v171, v29, v26 offset0:106 offset1:155
	v_sub_f32_e32 v26, v33, v27
	v_sub_f32_e32 v24, v25, v24
	ds_write2_b32 v86, v26, v24 offset0:76 offset1:125
	v_add_f32_e32 v24, v143, v153
	v_add_f32_e32 v25, v139, v154
	;; [unrolled: 1-line block ×5, first 2 shown]
	v_sub_f32_e32 v30, v142, v156
	v_sub_f32_e32 v32, v151, v152
	;; [unrolled: 1-line block ×5, first 2 shown]
	v_add_f32_e32 v26, v26, v27
	v_sub_f32_e32 v27, v144, v155
	v_add_f32_e32 v33, v32, v30
	v_sub_f32_e32 v34, v32, v30
	v_sub_f32_e32 v32, v27, v32
	;; [unrolled: 1-line block ×3, first 2 shown]
	v_add_f32_e32 v27, v33, v27
	v_add_f32_e32 v33, v51, v26
	ds_write2_b32 v99, v35, v36 offset0:136 offset1:185
	v_mov_b32_e32 v35, v33
	v_mul_f32_e32 v24, 0x3f4a47b2, v24
	v_fmac_f32_e32 v35, 0xbf955555, v26
	v_mul_f32_e32 v26, 0x3f08b237, v34
	v_fma_f32 v34, v29, s6, -v24
	v_fmac_f32_e32 v24, 0x3d64c772, v25
	v_mul_f32_e32 v25, 0x3d64c772, v25
	v_fma_f32 v25, v29, s4, -v25
	v_mul_f32_e32 v29, 0xbf5ff5aa, v30
	v_fma_f32 v36, v30, s5, -v26
	v_fma_f32 v29, v32, s7, -v29
	v_fmac_f32_e32 v26, 0xbeae86e6, v32
	v_lshl_add_u32 v51, v54, 2, 0
	v_add_f32_e32 v25, v25, v35
	v_add_f32_e32 v30, v34, v35
	v_fmac_f32_e32 v36, 0xbee1c552, v27
	v_fmac_f32_e32 v29, 0xbee1c552, v27
	;; [unrolled: 1-line block ×3, first 2 shown]
	v_add_f32_e32 v27, v29, v30
	v_sub_f32_e32 v32, v25, v36
	v_add_u32_e32 v169, 0xc00, v51
	v_add_f32_e32 v24, v24, v35
	ds_write2_b32 v169, v27, v32 offset0:16 offset1:65
	v_add_f32_e32 v25, v36, v25
	v_sub_f32_e32 v27, v30, v29
	v_add_f32_e32 v37, v26, v24
	v_add_u32_e32 v170, 0x800, v51
	ds_write2_b32 v169, v25, v27 offset0:114 offset1:163
	v_add_f32_e32 v25, v76, v131
	v_add_f32_e32 v27, v77, v15
	ds_write2_b32 v170, v33, v37 offset0:174 offset1:223
	v_add_f32_e32 v29, v125, v127
	v_add_f32_e32 v30, v27, v25
	v_sub_f32_e32 v33, v93, v130
	v_sub_f32_e32 v34, v128, v126
	;; [unrolled: 1-line block ×5, first 2 shown]
	v_add_f32_e32 v29, v29, v30
	v_sub_f32_e32 v30, v88, v134
	v_add_f32_e32 v35, v34, v33
	v_sub_f32_e32 v36, v34, v33
	v_sub_f32_e32 v34, v30, v34
	;; [unrolled: 1-line block ×3, first 2 shown]
	v_add_f32_e32 v30, v35, v30
	v_add_f32_e32 v35, v49, v29
	v_mov_b32_e32 v37, v35
	v_mul_f32_e32 v25, 0x3f4a47b2, v25
	v_fmac_f32_e32 v37, 0xbf955555, v29
	v_mul_f32_e32 v29, 0x3f08b237, v36
	v_fma_f32 v36, v32, s6, -v25
	v_fmac_f32_e32 v25, 0x3d64c772, v27
	v_mul_f32_e32 v27, 0x3d64c772, v27
	v_fma_f32 v27, v32, s4, -v27
	v_mul_f32_e32 v32, 0xbf5ff5aa, v33
	v_fma_f32 v38, v33, s5, -v29
	v_fma_f32 v32, v34, s7, -v32
	v_fmac_f32_e32 v29, 0xbeae86e6, v34
	v_lshl_add_u32 v49, v53, 2, 0
	v_add_f32_e32 v27, v27, v37
	v_add_f32_e32 v33, v36, v37
	v_fmac_f32_e32 v38, 0xbee1c552, v30
	v_fmac_f32_e32 v32, 0xbee1c552, v30
	;; [unrolled: 1-line block ×3, first 2 shown]
	v_add_u32_e32 v52, 0x1000, v49
	v_add_f32_e32 v30, v32, v33
	v_sub_f32_e32 v34, v27, v38
	v_add_f32_e32 v25, v25, v37
	ds_write2_b32 v52, v30, v34 offset0:103 offset1:152
	v_add_f32_e32 v27, v38, v27
	v_sub_f32_e32 v30, v33, v32
	v_add_f32_e32 v39, v29, v25
	ds_write2_b32 v52, v27, v30 offset0:201 offset1:250
	v_add_f32_e32 v27, v78, v8
	v_add_f32_e32 v30, v75, v9
	ds_write2_b32 v52, v35, v39 offset0:5 offset1:54
	v_add_f32_e32 v32, v122, v121
	v_add_f32_e32 v33, v30, v27
	v_sub_f32_e32 v35, v80, v11
	v_sub_f32_e32 v36, v123, v124
	;; [unrolled: 1-line block ×5, first 2 shown]
	v_add_f32_e32 v32, v32, v33
	v_sub_f32_e32 v33, v94, v10
	v_add_f32_e32 v37, v36, v35
	v_sub_f32_e32 v38, v36, v35
	v_sub_f32_e32 v36, v33, v36
	;; [unrolled: 1-line block ×3, first 2 shown]
	v_add_f32_e32 v33, v37, v33
	v_add_f32_e32 v37, v48, v32
	v_mov_b32_e32 v39, v37
	v_mul_f32_e32 v27, 0x3f4a47b2, v27
	v_fmac_f32_e32 v39, 0xbf955555, v32
	v_mul_f32_e32 v32, 0x3f08b237, v38
	v_fma_f32 v38, v34, s6, -v27
	v_fmac_f32_e32 v27, 0x3d64c772, v30
	v_mul_f32_e32 v30, 0x3d64c772, v30
	v_fma_f32 v30, v34, s4, -v30
	v_mul_f32_e32 v34, 0xbf5ff5aa, v35
	v_fma_f32 v41, v35, s5, -v32
	v_fma_f32 v34, v36, s7, -v34
	v_fmac_f32_e32 v32, 0xbeae86e6, v36
	v_lshl_add_u32 v48, v57, 2, 0
	v_add_f32_e32 v30, v30, v39
	v_add_f32_e32 v35, v38, v39
	v_fmac_f32_e32 v41, 0xbee1c552, v33
	v_fmac_f32_e32 v34, 0xbee1c552, v33
	;; [unrolled: 1-line block ×3, first 2 shown]
	v_add_u32_e32 v162, 0x1400, v48
	v_add_f32_e32 v33, v34, v35
	v_sub_f32_e32 v36, v30, v41
	v_add_f32_e32 v27, v27, v39
	ds_write2_b32 v162, v33, v36 offset0:190 offset1:239
	v_add_f32_e32 v30, v41, v30
	v_sub_f32_e32 v33, v35, v34
	v_add_u32_e32 v163, 0x1800, v48
	v_add_f32_e32 v53, v32, v27
	ds_write2_b32 v163, v30, v33 offset0:32 offset1:81
	v_add_f32_e32 v30, v71, v6
	v_add_f32_e32 v33, v72, v4
	ds_write2_b32 v162, v37, v53 offset0:92 offset1:141
	v_add_f32_e32 v34, v117, v119
	v_add_f32_e32 v35, v33, v30
	v_sub_f32_e32 v37, v74, v5
	v_sub_f32_e32 v38, v120, v118
	;; [unrolled: 1-line block ×5, first 2 shown]
	v_add_f32_e32 v34, v34, v35
	v_sub_f32_e32 v35, v73, v7
	v_add_f32_e32 v39, v38, v37
	v_sub_f32_e32 v41, v38, v37
	v_sub_f32_e32 v38, v35, v38
	;; [unrolled: 1-line block ×3, first 2 shown]
	v_add_f32_e32 v35, v39, v35
	v_add_f32_e32 v39, v47, v34
	v_mov_b32_e32 v47, v39
	v_mul_f32_e32 v30, 0x3f4a47b2, v30
	v_fmac_f32_e32 v47, 0xbf955555, v34
	v_mul_f32_e32 v34, 0x3f08b237, v41
	v_fma_f32 v41, v36, s6, -v30
	v_fmac_f32_e32 v30, 0x3d64c772, v33
	v_mul_f32_e32 v33, 0x3d64c772, v33
	v_fma_f32 v33, v36, s4, -v33
	v_mul_f32_e32 v36, 0xbf5ff5aa, v37
	v_fma_f32 v53, v37, s5, -v34
	v_fma_f32 v36, v38, s7, -v36
	v_fmac_f32_e32 v34, 0xbeae86e6, v38
	v_lshl_add_u32 v164, v60, 2, 0
	v_add_f32_e32 v33, v33, v47
	v_add_f32_e32 v37, v41, v47
	v_fmac_f32_e32 v53, 0xbee1c552, v35
	v_fmac_f32_e32 v36, 0xbee1c552, v35
	;; [unrolled: 1-line block ×3, first 2 shown]
	v_add_f32_e32 v35, v36, v37
	v_sub_f32_e32 v38, v33, v53
	v_add_u32_e32 v166, 0x1c00, v164
	ds_write2_b32 v166, v35, v38 offset0:21 offset1:70
	v_add_f32_e32 v33, v53, v33
	v_sub_f32_e32 v35, v37, v36
	v_add_f32_e32 v30, v30, v47
	ds_write2_b32 v166, v33, v35 offset0:119 offset1:168
	v_add_f32_e32 v33, v55, v2
	v_add_f32_e32 v35, v56, v1
	;; [unrolled: 1-line block ×3, first 2 shown]
	v_add_u32_e32 v165, 0x1800, v164
	v_add_f32_e32 v36, v92, v115
	v_add_f32_e32 v37, v35, v33
	ds_write2_b32 v165, v39, v54 offset0:179 offset1:228
	v_sub_f32_e32 v38, v35, v33
	v_sub_f32_e32 v33, v33, v36
	;; [unrolled: 1-line block ×3, first 2 shown]
	v_add_f32_e32 v36, v36, v37
	v_sub_f32_e32 v39, v70, v0
	v_sub_f32_e32 v41, v116, v102
	v_add_f32_e32 v172, v45, v22
	v_add_f32_e32 v20, v40, v20
	v_sub_f32_e32 v37, v69, v3
	v_add_f32_e32 v47, v41, v39
	v_add_f32_e32 v46, v46, v36
	;; [unrolled: 1-line block ×3, first 2 shown]
	v_sub_f32_e32 v175, v43, v19
	v_add_f32_e32 v19, v20, v172
	v_sub_f32_e32 v53, v41, v39
	v_sub_f32_e32 v41, v37, v41
	;; [unrolled: 1-line block ×3, first 2 shown]
	v_add_f32_e32 v37, v47, v37
	v_mov_b32_e32 v47, v46
	v_mul_f32_e32 v33, 0x3f4a47b2, v33
	v_add_f32_e32 v19, v174, v19
	v_fmac_f32_e32 v47, 0xbf955555, v36
	v_mul_f32_e32 v36, 0x3f08b237, v53
	v_fma_f32 v53, v38, s6, -v33
	v_fmac_f32_e32 v33, 0x3d64c772, v35
	v_mul_f32_e32 v35, 0x3d64c772, v35
	v_sub_f32_e32 v18, v44, v18
	v_add_f32_e32 v176, v23, v19
	v_fma_f32 v35, v38, s4, -v35
	v_mul_f32_e32 v38, 0xbf5ff5aa, v39
	v_sub_f32_e32 v173, v31, v21
	v_mov_b32_e32 v177, v176
	v_sub_f32_e32 v178, v20, v172
	v_sub_f32_e32 v179, v174, v20
	;; [unrolled: 1-line block ×3, first 2 shown]
	v_fma_f32 v54, v39, s5, -v36
	v_fma_f32 v38, v41, s7, -v38
	v_fmac_f32_e32 v177, 0xbf955555, v19
	v_add_f32_e32 v19, v175, v18
	v_sub_f32_e32 v180, v18, v173
	v_mul_f32_e32 v182, 0x3f08b237, v20
	v_mul_f32_e32 v18, 0x3d64c772, v179
	v_fmac_f32_e32 v36, 0xbeae86e6, v41
	v_lshl_add_u32 v167, v59, 2, 0
	v_add_f32_e32 v35, v35, v47
	v_add_f32_e32 v39, v53, v47
	v_fmac_f32_e32 v54, 0xbee1c552, v37
	v_fmac_f32_e32 v38, 0xbee1c552, v37
	v_add_f32_e32 v181, v19, v173
	v_fma_f32 v18, v178, s4, -v18
	v_fma_f32 v19, v180, s5, -v182
	v_add_f32_e32 v33, v33, v47
	v_fmac_f32_e32 v36, 0xbee1c552, v37
	v_add_u32_e32 v168, 0x2000, v167
	v_add_f32_e32 v37, v38, v39
	v_sub_f32_e32 v41, v35, v54
	v_add_f32_e32 v18, v18, v177
	v_fmac_f32_e32 v19, 0xbee1c552, v181
	v_add_f32_e32 v57, v36, v33
	ds_write2_b32 v168, v37, v41 offset0:108 offset1:157
	v_add_f32_e32 v35, v54, v35
	v_sub_f32_e32 v37, v39, v38
	v_add_f32_e32 v183, v19, v18
	v_sub_f32_e32 v184, v18, v19
	v_sub_f32_e32 v18, v24, v26
	;; [unrolled: 1-line block ×6, first 2 shown]
	v_add_f32_e32 v88, v88, v134
	v_add_f32_e32 v93, v93, v130
	ds_write2_b32 v168, v46, v57 offset0:10 offset1:59
	ds_write2_b32 v168, v35, v37 offset0:206 offset1:255
	ds_write_b32 v51, v18 offset:3920
	ds_write_b32 v49, v19 offset:5292
	;; [unrolled: 1-line block ×5, first 2 shown]
	s_waitcnt lgkmcnt(0)
	; wave barrier
	s_waitcnt lgkmcnt(0)
	ds_read_b32 v113, v103
	ds_read_b32 v114, v97
	;; [unrolled: 1-line block ×7, first 2 shown]
	ds_read2_b32 v[26:27], v99 offset0:87 offset1:136
	ds_read2_b32 v[18:19], v86 offset0:125 offset1:174
	;; [unrolled: 1-line block ×21, first 2 shown]
	v_sub_f32_e32 v15, v77, v15
	v_add_f32_e32 v77, v126, v128
	v_sub_f32_e32 v125, v127, v125
	v_add_f32_e32 v126, v93, v88
	v_sub_f32_e32 v76, v76, v131
	v_sub_f32_e32 v127, v93, v88
	;; [unrolled: 1-line block ×4, first 2 shown]
	v_add_f32_e32 v77, v77, v126
	v_add_f32_e32 v126, v125, v15
	v_sub_f32_e32 v128, v125, v15
	v_sub_f32_e32 v125, v76, v125
	;; [unrolled: 1-line block ×3, first 2 shown]
	v_add_f32_e32 v76, v126, v76
	v_add_f32_e32 v126, v147, v77
	v_mov_b32_e32 v130, v126
	v_add_f32_e32 v135, v135, v160
	v_add_f32_e32 v136, v136, v158
	v_fmac_f32_e32 v130, 0xbf955555, v77
	v_mul_f32_e32 v77, 0x3f4a47b2, v88
	v_mul_f32_e32 v88, 0x3d64c772, v93
	v_sub_f32_e32 v133, v133, v157
	v_add_f32_e32 v140, v140, v145
	v_sub_f32_e32 v137, v141, v137
	v_add_f32_e32 v141, v136, v135
	v_fma_f32 v88, v127, s4, -v88
	v_fma_f32 v127, v127, s6, -v77
	v_fmac_f32_e32 v77, 0x3d64c772, v93
	v_mul_f32_e32 v93, 0x3f08b237, v128
	v_mul_f32_e32 v128, 0xbf5ff5aa, v15
	v_sub_f32_e32 v132, v132, v159
	v_sub_f32_e32 v145, v136, v135
	;; [unrolled: 1-line block ×4, first 2 shown]
	v_add_f32_e32 v140, v140, v141
	v_add_f32_e32 v141, v137, v133
	v_fma_f32 v15, v15, s5, -v93
	v_fmac_f32_e32 v93, 0xbeae86e6, v125
	v_fma_f32 v125, v125, s7, -v128
	v_add_f32_e32 v10, v94, v10
	v_add_f32_e32 v11, v80, v11
	v_sub_f32_e32 v157, v137, v133
	v_sub_f32_e32 v137, v132, v137
	;; [unrolled: 1-line block ×3, first 2 shown]
	v_add_f32_e32 v132, v141, v132
	v_add_f32_e32 v141, v161, v140
	v_add_f32_e32 v77, v77, v130
	v_add_f32_e32 v88, v88, v130
	v_add_f32_e32 v127, v127, v130
	v_fmac_f32_e32 v93, 0xbee1c552, v76
	v_fmac_f32_e32 v15, 0xbee1c552, v76
	;; [unrolled: 1-line block ×3, first 2 shown]
	v_sub_f32_e32 v8, v78, v8
	v_sub_f32_e32 v9, v75, v9
	v_add_f32_e32 v75, v124, v123
	v_sub_f32_e32 v78, v121, v122
	v_add_f32_e32 v80, v11, v10
	v_mov_b32_e32 v158, v141
	v_add_f32_e32 v76, v15, v88
	v_sub_f32_e32 v15, v88, v15
	v_sub_f32_e32 v88, v127, v125
	v_add_f32_e32 v125, v125, v127
	v_sub_f32_e32 v127, v77, v93
	v_add_f32_e32 v77, v93, v77
	v_sub_f32_e32 v93, v11, v10
	v_sub_f32_e32 v10, v10, v75
	v_sub_f32_e32 v11, v75, v11
	v_add_f32_e32 v75, v75, v80
	v_add_f32_e32 v80, v78, v9
	v_fmac_f32_e32 v158, 0xbf955555, v140
	v_mul_f32_e32 v135, 0x3f4a47b2, v135
	v_mul_f32_e32 v140, 0x3f08b237, v157
	v_sub_f32_e32 v94, v78, v9
	v_sub_f32_e32 v78, v8, v78
	;; [unrolled: 1-line block ×3, first 2 shown]
	v_add_f32_e32 v8, v80, v8
	v_add_f32_e32 v80, v146, v75
	v_fma_f32 v157, v145, s6, -v135
	v_fmac_f32_e32 v135, 0x3d64c772, v136
	v_fma_f32 v159, v133, s5, -v140
	v_fmac_f32_e32 v140, 0xbeae86e6, v137
	v_mul_f32_e32 v136, 0x3d64c772, v136
	v_mul_f32_e32 v133, 0xbf5ff5aa, v133
	v_mov_b32_e32 v121, v80
	v_add_f32_e32 v135, v135, v158
	v_fmac_f32_e32 v140, 0xbee1c552, v132
	v_fma_f32 v136, v145, s4, -v136
	v_fma_f32 v133, v137, s7, -v133
	v_fmac_f32_e32 v121, 0xbf955555, v75
	v_mul_f32_e32 v10, 0x3f4a47b2, v10
	v_mul_f32_e32 v75, 0x3d64c772, v11
	v_sub_f32_e32 v160, v135, v140
	v_add_f32_e32 v136, v136, v158
	v_add_f32_e32 v137, v157, v158
	v_fmac_f32_e32 v159, 0xbee1c552, v132
	v_fmac_f32_e32 v133, 0xbee1c552, v132
	v_fma_f32 v75, v93, s4, -v75
	v_fma_f32 v93, v93, s6, -v10
	v_fmac_f32_e32 v10, 0x3d64c772, v11
	v_mul_f32_e32 v11, 0x3f08b237, v94
	v_mul_f32_e32 v94, 0xbf5ff5aa, v9
	s_waitcnt lgkmcnt(0)
	; wave barrier
	s_waitcnt lgkmcnt(0)
	ds_write2_b32 v103, v141, v160 offset1:49
	v_sub_f32_e32 v132, v137, v133
	v_add_f32_e32 v141, v159, v136
	v_fma_f32 v9, v9, s5, -v11
	v_fmac_f32_e32 v11, 0xbeae86e6, v78
	v_fma_f32 v78, v78, s7, -v94
	ds_write2_b32 v103, v132, v141 offset0:98 offset1:147
	v_sub_f32_e32 v132, v136, v159
	v_add_f32_e32 v133, v133, v137
	v_add_f32_e32 v10, v10, v121
	;; [unrolled: 1-line block ×4, first 2 shown]
	v_fmac_f32_e32 v11, 0xbee1c552, v8
	v_fmac_f32_e32 v9, 0xbee1c552, v8
	;; [unrolled: 1-line block ×3, first 2 shown]
	v_add_f32_e32 v7, v73, v7
	v_add_f32_e32 v5, v74, v5
	ds_write2_b32 v103, v132, v133 offset0:196 offset1:245
	v_add_f32_e32 v132, v140, v135
	v_add_f32_e32 v8, v9, v75
	v_sub_f32_e32 v9, v75, v9
	v_sub_f32_e32 v75, v93, v78
	v_add_f32_e32 v78, v78, v93
	v_sub_f32_e32 v93, v10, v11
	v_add_f32_e32 v10, v11, v10
	v_sub_f32_e32 v6, v71, v6
	v_sub_f32_e32 v4, v72, v4
	v_add_f32_e32 v11, v118, v120
	v_sub_f32_e32 v71, v119, v117
	v_add_f32_e32 v72, v5, v7
	ds_write2_b32 v99, v132, v176 offset0:38 offset1:87
	v_sub_f32_e32 v132, v172, v174
	v_sub_f32_e32 v73, v5, v7
	;; [unrolled: 1-line block ×4, first 2 shown]
	v_add_f32_e32 v11, v11, v72
	v_add_f32_e32 v72, v71, v4
	v_sub_f32_e32 v133, v173, v175
	v_mul_f32_e32 v132, 0x3f4a47b2, v132
	v_mul_f32_e32 v136, 0xbf5ff5aa, v180
	v_sub_f32_e32 v74, v71, v4
	v_sub_f32_e32 v71, v6, v71
	;; [unrolled: 1-line block ×3, first 2 shown]
	v_add_f32_e32 v6, v72, v6
	v_add_f32_e32 v72, v138, v11
	v_fma_f32 v135, v178, s6, -v132
	v_fmac_f32_e32 v132, 0x3d64c772, v179
	v_fmac_f32_e32 v182, 0xbeae86e6, v133
	v_fma_f32 v133, v133, s7, -v136
	v_mov_b32_e32 v94, v72
	v_add_f32_e32 v132, v132, v177
	v_add_f32_e32 v135, v135, v177
	v_fmac_f32_e32 v182, 0xbee1c552, v181
	v_fmac_f32_e32 v133, 0xbee1c552, v181
	;; [unrolled: 1-line block ×3, first 2 shown]
	v_mul_f32_e32 v7, 0x3f4a47b2, v7
	v_mul_f32_e32 v11, 0x3d64c772, v5
	v_sub_f32_e32 v136, v132, v182
	v_sub_f32_e32 v137, v135, v133
	v_add_f32_e32 v133, v133, v135
	v_add_f32_e32 v132, v182, v132
	v_fma_f32 v11, v73, s4, -v11
	v_fma_f32 v73, v73, s6, -v7
	v_fmac_f32_e32 v7, 0x3d64c772, v5
	v_mul_f32_e32 v5, 0x3f08b237, v74
	v_mul_f32_e32 v74, 0xbf5ff5aa, v4
	ds_write2_b32 v86, v133, v132 offset0:76 offset1:125
	v_add_f32_e32 v132, v144, v155
	v_add_f32_e32 v135, v142, v156
	v_fma_f32 v4, v4, s5, -v5
	v_fmac_f32_e32 v5, 0xbeae86e6, v71
	v_fma_f32 v71, v71, s7, -v74
	ds_write2_b32 v99, v136, v137 offset0:136 offset1:185
	v_sub_f32_e32 v136, v139, v154
	v_add_f32_e32 v137, v152, v151
	v_sub_f32_e32 v139, v149, v150
	v_add_f32_e32 v140, v135, v132
	v_add_f32_e32 v7, v7, v94
	;; [unrolled: 1-line block ×4, first 2 shown]
	v_fmac_f32_e32 v5, 0xbee1c552, v6
	v_fmac_f32_e32 v4, 0xbee1c552, v6
	v_fmac_f32_e32 v71, 0xbee1c552, v6
	v_add_f32_e32 v3, v69, v3
	v_add_f32_e32 v0, v70, v0
	v_sub_f32_e32 v133, v143, v153
	v_sub_f32_e32 v141, v135, v132
	v_sub_f32_e32 v132, v132, v137
	v_sub_f32_e32 v135, v137, v135
	v_add_f32_e32 v137, v137, v140
	v_add_f32_e32 v140, v139, v136
	;; [unrolled: 1-line block ×3, first 2 shown]
	v_sub_f32_e32 v4, v11, v4
	v_sub_f32_e32 v11, v73, v71
	v_add_f32_e32 v71, v71, v73
	v_sub_f32_e32 v73, v7, v5
	v_add_f32_e32 v5, v5, v7
	;; [unrolled: 2-line block ×3, first 2 shown]
	v_add_f32_e32 v56, v0, v3
	v_sub_f32_e32 v142, v139, v136
	v_sub_f32_e32 v139, v133, v139
	;; [unrolled: 1-line block ×3, first 2 shown]
	v_add_f32_e32 v133, v140, v133
	v_add_f32_e32 v140, v148, v137
	v_sub_f32_e32 v2, v55, v2
	v_sub_f32_e32 v55, v115, v92
	;; [unrolled: 1-line block ×5, first 2 shown]
	v_add_f32_e32 v7, v7, v56
	v_mov_b32_e32 v143, v140
	v_mul_f32_e32 v132, 0x3f4a47b2, v132
	v_mul_f32_e32 v142, 0x3f08b237, v142
	v_add_f32_e32 v56, v55, v1
	v_add_f32_e32 v14, v14, v7
	v_fmac_f32_e32 v143, 0xbf955555, v137
	v_fma_f32 v137, v141, s6, -v132
	v_fmac_f32_e32 v132, 0x3d64c772, v135
	v_fma_f32 v144, v136, s5, -v142
	v_mul_f32_e32 v135, 0x3d64c772, v135
	v_mul_f32_e32 v136, 0xbf5ff5aa, v136
	v_sub_f32_e32 v70, v55, v1
	v_sub_f32_e32 v55, v2, v55
	;; [unrolled: 1-line block ×3, first 2 shown]
	v_add_f32_e32 v2, v56, v2
	v_mov_b32_e32 v56, v14
	v_fma_f32 v135, v141, s4, -v135
	v_fma_f32 v136, v139, s7, -v136
	v_fmac_f32_e32 v56, 0xbf955555, v7
	v_mul_f32_e32 v3, 0x3f4a47b2, v3
	v_mul_f32_e32 v7, 0x3d64c772, v0
	v_fmac_f32_e32 v142, 0xbeae86e6, v139
	v_add_f32_e32 v135, v135, v143
	v_add_f32_e32 v137, v137, v143
	v_fmac_f32_e32 v144, 0xbee1c552, v133
	v_fmac_f32_e32 v136, 0xbee1c552, v133
	v_fma_f32 v7, v69, s4, -v7
	v_fma_f32 v69, v69, s6, -v3
	v_fmac_f32_e32 v3, 0x3d64c772, v0
	v_mul_f32_e32 v0, 0x3f08b237, v70
	v_mul_f32_e32 v70, 0xbf5ff5aa, v1
	v_add_f32_e32 v132, v132, v143
	v_fmac_f32_e32 v142, 0xbee1c552, v133
	v_add_f32_e32 v133, v144, v135
	v_sub_f32_e32 v139, v137, v136
	v_fma_f32 v1, v1, s5, -v0
	v_fmac_f32_e32 v0, 0xbeae86e6, v55
	v_fma_f32 v55, v55, s7, -v70
	ds_write2_b32 v171, v183, v184 offset0:106 offset1:155
	v_sub_f32_e32 v145, v132, v142
	ds_write2_b32 v169, v139, v133 offset0:16 offset1:65
	v_sub_f32_e32 v133, v135, v144
	v_add_f32_e32 v135, v136, v137
	v_add_f32_e32 v132, v142, v132
	;; [unrolled: 1-line block ×5, first 2 shown]
	v_fmac_f32_e32 v0, 0xbee1c552, v2
	v_fmac_f32_e32 v1, 0xbee1c552, v2
	v_fmac_f32_e32 v55, 0xbee1c552, v2
	ds_write2_b32 v170, v140, v145 offset0:174 offset1:223
	ds_write2_b32 v169, v133, v135 offset0:114 offset1:163
	v_add_f32_e32 v2, v1, v7
	v_sub_f32_e32 v1, v7, v1
	v_sub_f32_e32 v7, v56, v55
	v_add_f32_e32 v55, v55, v56
	v_sub_f32_e32 v56, v3, v0
	v_add_f32_e32 v0, v0, v3
	ds_write_b32 v51, v132 offset:3920
	ds_write2_b32 v52, v126, v127 offset0:5 offset1:54
	ds_write2_b32 v52, v88, v76 offset0:103 offset1:152
	ds_write2_b32 v52, v15, v125 offset0:201 offset1:250
	ds_write_b32 v49, v77 offset:5292
	ds_write2_b32 v162, v80, v93 offset0:92 offset1:141
	ds_write2_b32 v162, v75, v8 offset0:190 offset1:239
	ds_write2_b32 v163, v9, v78 offset0:32 offset1:81
	;; [unrolled: 4-line block ×4, first 2 shown]
	ds_write_b32 v167, v0 offset:9408
	s_waitcnt lgkmcnt(0)
	; wave barrier
	s_waitcnt lgkmcnt(0)
	s_and_saveexec_b64 s[8:9], vcc
	s_cbranch_execz .LBB0_15
; %bb.14:
	v_mul_i32_i24_e32 v75, 6, v112
	v_mov_b32_e32 v76, 0
	v_lshlrev_b64 v[0:1], 3, v[75:76]
	v_mov_b32_e32 v102, s13
	v_add_co_u32_e32 v14, vcc, s12, v0
	v_addc_co_u32_e32 v15, vcc, v102, v1, vcc
	global_load_dwordx4 v[0:3], v[14:15], off offset:2688
	global_load_dwordx4 v[4:7], v[14:15], off offset:2720
	;; [unrolled: 1-line block ×3, first 2 shown]
	v_mul_i32_i24_e32 v14, 0xffffffe8, v112
	v_mul_lo_u32 v15, s1, v12
	v_mul_lo_u32 v80, s0, v13
	v_mad_u64_u32 v[48:49], s[0:1], s0, v12, 0
	v_add_u32_e32 v12, v79, v14
	v_mul_i32_i24_e32 v75, 6, v111
	ds_read2_b32 v[51:52], v86 offset0:125 offset1:174
	ds_read2_b32 v[77:78], v62 offset0:127 offset1:176
	;; [unrolled: 1-line block ×6, first 2 shown]
	v_add_co_u32_e32 v69, vcc, s12, v50
	ds_read_b32 v50, v12
	v_lshlrev_b64 v[12:13], 3, v[75:76]
	v_addc_co_u32_e32 v70, vcc, 0, v102, vcc
	v_add_co_u32_e32 v79, vcc, s12, v12
	v_add3_u32 v49, v49, v80, v15
	v_addc_co_u32_e32 v80, vcc, v102, v13, vcc
	global_load_dwordx4 v[12:15], v[69:70], off offset:2720
	global_load_dwordx4 v[115:118], v[79:80], off offset:2720
	;; [unrolled: 1-line block ×4, first 2 shown]
	ds_read2_b32 v[131:132], v90 offset0:119 offset1:168
	ds_read2_b32 v[137:138], v90 offset0:21 offset1:70
	s_mov_b32 s0, 0xbf112a8b
	s_movk_i32 s1, 0x961
	ds_read_b32 v103, v103
	ds_read_b32 v84, v84
	s_waitcnt vmcnt(6) lgkmcnt(10)
	v_mul_f32_e32 v75, v1, v51
	s_waitcnt vmcnt(5) lgkmcnt(9)
	v_mul_f32_e32 v79, v7, v78
	;; [unrolled: 2-line block ×3, first 2 shown]
	s_waitcnt lgkmcnt(7)
	v_mul_f32_e32 v88, v9, v55
	s_waitcnt lgkmcnt(6)
	v_mul_f32_e32 v92, v3, v74
	;; [unrolled: 2-line block ×3, first 2 shown]
	v_mul_f32_e32 v7, v68, v7
	v_mul_f32_e32 v1, v18, v1
	;; [unrolled: 1-line block ×6, first 2 shown]
	v_fmac_f32_e32 v75, v18, v0
	v_fmac_f32_e32 v79, v68, v6
	;; [unrolled: 1-line block ×6, first 2 shown]
	v_fma_f32 v18, v6, v78, -v7
	v_fma_f32 v0, v0, v51, -v1
	;; [unrolled: 1-line block ×6, first 2 shown]
	v_sub_f32_e32 v3, v75, v79
	v_sub_f32_e32 v1, v80, v88
	;; [unrolled: 1-line block ×3, first 2 shown]
	v_add_f32_e32 v10, v0, v18
	v_add_f32_e32 v11, v2, v4
	;; [unrolled: 1-line block ×3, first 2 shown]
	v_sub_f32_e32 v51, v3, v1
	v_sub_f32_e32 v7, v1, v5
	v_add_f32_e32 v1, v1, v5
	v_add_f32_e32 v64, v10, v11
	v_sub_f32_e32 v61, v6, v11
	v_add_f32_e32 v72, v3, v1
	v_add_f32_e32 v1, v6, v64
	v_mul_f32_e32 v68, 0x3f08b237, v7
	v_mul_f32_e32 v61, 0x3d64c772, v61
	s_waitcnt lgkmcnt(4)
	v_add_f32_e32 v7, v50, v1
	v_sub_f32_e32 v55, v10, v6
	v_mov_b32_e32 v6, v61
	v_mov_b32_e32 v50, v7
	v_add_f32_e32 v28, v80, v88
	v_fmac_f32_e32 v6, 0x3f4a47b2, v55
	v_fmac_f32_e32 v50, 0xbf955555, v1
	v_add_f32_e32 v78, v92, v93
	v_add_f32_e32 v22, v75, v79
	v_mul_f32_e32 v74, 0x3f4a47b2, v55
	v_add_f32_e32 v55, v6, v50
	v_sub_f32_e32 v6, v28, v78
	v_sub_f32_e32 v5, v5, v3
	v_mov_b32_e32 v75, v68
	v_mul_f32_e32 v79, 0x3d64c772, v6
	v_add_f32_e32 v6, v22, v78
	v_mul_f32_e32 v3, 0xbf5ff5aa, v5
	v_sub_f32_e32 v10, v11, v10
	v_sub_f32_e32 v66, v22, v28
	v_fmac_f32_e32 v75, 0xbeae86e6, v51
	v_add_f32_e32 v28, v28, v6
	v_fma_f32 v51, v51, s7, -v3
	v_fma_f32 v3, v10, s6, -v74
	v_fmac_f32_e32 v75, 0xbee1c552, v72
	v_mov_b32_e32 v80, v79
	v_add_f32_e32 v6, v129, v28
	v_sub_f32_e32 v18, v0, v18
	v_sub_f32_e32 v0, v9, v8
	;; [unrolled: 1-line block ×3, first 2 shown]
	v_fmac_f32_e32 v51, 0xbee1c552, v72
	v_add_f32_e32 v11, v3, v50
	v_mul_f32_e32 v64, 0x3f4a47b2, v66
	v_add_f32_e32 v1, v75, v55
	v_fmac_f32_e32 v80, 0x3f4a47b2, v66
	v_mov_b32_e32 v66, v6
	v_sub_f32_e32 v8, v18, v0
	v_sub_f32_e32 v4, v0, v2
	v_add_f32_e32 v0, v0, v2
	v_add_f32_e32 v3, v51, v11
	ds_read2_b32 v[92:93], v86 offset0:27 offset1:76
	v_sub_f32_e32 v11, v11, v51
	v_sub_f32_e32 v51, v55, v75
	v_mul_i32_i24_e32 v75, 6, v110
	ds_read2_b32 v[110:111], v105 offset0:201 offset1:250
	v_fmac_f32_e32 v66, 0xbf955555, v28
	v_mul_f32_e32 v4, 0x3f08b237, v4
	v_add_f32_e32 v9, v18, v0
	v_sub_f32_e32 v18, v2, v18
	v_add_f32_e32 v28, v80, v66
	v_mov_b32_e32 v80, v4
	v_sub_f32_e32 v22, v78, v22
	v_mul_f32_e32 v2, 0xbf5ff5aa, v18
	v_fmac_f32_e32 v80, 0xbeae86e6, v8
	v_fma_f32 v64, v22, s6, -v64
	v_fma_f32 v74, v8, s7, -v2
	;; [unrolled: 1-line block ×6, first 2 shown]
	v_add_f32_e32 v64, v64, v66
	v_fmac_f32_e32 v74, 0xbee1c552, v9
	v_add_f32_e32 v8, v8, v50
	v_fmac_f32_e32 v10, 0xbee1c552, v72
	v_fmac_f32_e32 v18, 0xbee1c552, v9
	v_add_f32_e32 v22, v4, v66
	v_fmac_f32_e32 v80, 0xbee1c552, v9
	v_sub_f32_e32 v2, v64, v74
	v_sub_f32_e32 v5, v8, v10
	v_add_f32_e32 v4, v18, v22
	v_add_f32_e32 v9, v10, v8
	v_sub_f32_e32 v8, v22, v18
	v_add_f32_e32 v10, v74, v64
	s_waitcnt vmcnt(1) lgkmcnt(1)
	v_mul_f32_e32 v18, v120, v93
	v_mul_f32_e32 v22, v118, v77
	s_waitcnt vmcnt(0)
	v_mul_f32_e32 v61, v126, v71
	s_waitcnt lgkmcnt(0)
	v_mul_f32_e32 v64, v124, v111
	v_mul_f32_e32 v72, v122, v73
	;; [unrolled: 1-line block ×3, first 2 shown]
	v_fmac_f32_e32 v18, v60, v119
	v_lshlrev_b64 v[74:75], 3, v[75:76]
	v_fmac_f32_e32 v22, v67, v117
	v_fmac_f32_e32 v61, v65, v125
	;; [unrolled: 1-line block ×5, first 2 shown]
	v_sub_f32_e32 v0, v28, v80
	v_add_f32_e32 v50, v80, v28
	v_sub_f32_e32 v28, v18, v22
	v_sub_f32_e32 v55, v61, v64
	;; [unrolled: 1-line block ×3, first 2 shown]
	v_add_co_u32_e32 v74, vcc, s12, v74
	v_sub_f32_e32 v66, v28, v55
	v_sub_f32_e32 v68, v55, v88
	v_add_f32_e32 v55, v55, v88
	v_addc_co_u32_e32 v75, vcc, v102, v75, vcc
	v_add_f32_e32 v133, v28, v55
	v_mul_f32_e32 v55, v67, v118
	v_mul_f32_e32 v54, v54, v116
	global_load_dwordx4 v[127:130], v[74:75], off offset:2688
	v_fma_f32 v134, v117, v77, -v55
	v_fma_f32 v54, v115, v132, -v54
	global_load_dwordx4 v[115:118], v[74:75], off offset:2704
	global_load_dwordx4 v[77:80], v[74:75], off offset:2720
	v_mul_f32_e32 v55, v60, v120
	v_fma_f32 v60, v119, v93, -v55
	v_mul_f32_e32 v55, v58, v124
	v_fma_f32 v58, v123, v111, -v55
	v_mul_f32_e32 v55, v65, v126
	v_mul_f32_e32 v63, v63, v122
	v_fma_f32 v65, v125, v71, -v55
	v_fma_f32 v63, v121, v73, -v63
	v_add_f32_e32 v55, v65, v58
	v_add_f32_e32 v73, v63, v54
	v_mul_f32_e32 v94, 0x3f08b237, v68
	v_sub_f32_e32 v68, v55, v73
	v_add_f32_e32 v93, v60, v134
	v_mul_f32_e32 v74, 0x3d64c772, v68
	v_sub_f32_e32 v67, v93, v55
	v_mov_b32_e32 v75, v74
	v_mul_f32_e32 v71, 0x3f4a47b2, v67
	v_fmac_f32_e32 v75, 0x3f4a47b2, v67
	v_add_f32_e32 v67, v93, v73
	v_add_f32_e32 v18, v18, v22
	v_add_f32_e32 v22, v61, v64
	v_add_f32_e32 v72, v72, v86
	v_add_f32_e32 v55, v55, v67
	v_sub_f32_e32 v67, v22, v72
	v_mul_f32_e32 v86, 0x3d64c772, v67
	v_sub_f32_e32 v61, v18, v22
	v_mov_b32_e32 v111, v86
	ds_read_b32 v68, v85
	v_mul_f32_e32 v64, 0x3f4a47b2, v61
	v_fmac_f32_e32 v111, 0x3f4a47b2, v61
	v_add_f32_e32 v61, v18, v72
	v_add_f32_e32 v22, v22, v61
	;; [unrolled: 1-line block ×3, first 2 shown]
	v_mov_b32_e32 v96, v67
	v_sub_f32_e32 v58, v65, v58
	v_sub_f32_e32 v63, v63, v54
	v_fmac_f32_e32 v96, 0xbf955555, v22
	v_sub_f32_e32 v60, v60, v134
	v_sub_f32_e32 v54, v58, v63
	;; [unrolled: 1-line block ×3, first 2 shown]
	v_mov_b32_e32 v112, v94
	s_waitcnt lgkmcnt(0)
	v_add_f32_e32 v68, v68, v55
	v_add_f32_e32 v22, v111, v96
	v_mul_f32_e32 v111, 0x3f08b237, v54
	v_add_f32_e32 v54, v58, v63
	v_mul_f32_e32 v61, 0xbf5ff5aa, v28
	v_sub_f32_e32 v18, v72, v18
	v_sub_f32_e32 v63, v63, v60
	v_fmac_f32_e32 v112, 0xbeae86e6, v66
	v_mov_b32_e32 v85, v68
	v_sub_f32_e32 v65, v60, v58
	v_add_f32_e32 v58, v60, v54
	v_fma_f32 v88, v66, s7, -v61
	v_sub_f32_e32 v66, v73, v93
	v_fma_f32 v64, v18, s6, -v64
	v_mul_f32_e32 v60, 0xbf5ff5aa, v63
	v_fmac_f32_e32 v85, 0xbf955555, v55
	v_mov_b32_e32 v119, v111
	v_fma_f32 v61, v66, s6, -v71
	v_add_f32_e32 v73, v64, v96
	v_fma_f32 v93, v65, s7, -v60
	v_fma_f32 v64, v66, s4, -v74
	;; [unrolled: 1-line block ×5, first 2 shown]
	v_fmac_f32_e32 v119, 0xbeae86e6, v65
	v_fmac_f32_e32 v88, 0xbee1c552, v133
	v_add_f32_e32 v71, v61, v85
	v_fmac_f32_e32 v93, 0xbee1c552, v58
	v_add_f32_e32 v65, v64, v85
	v_fmac_f32_e32 v28, 0xbee1c552, v133
	v_fmac_f32_e32 v72, 0xbee1c552, v58
	v_add_f32_e32 v18, v18, v96
	v_fmac_f32_e32 v112, 0xbee1c552, v133
	v_add_f32_e32 v61, v88, v71
	v_sub_f32_e32 v60, v73, v93
	v_sub_f32_e32 v64, v65, v28
	v_add_f32_e32 v63, v72, v18
	v_add_f32_e32 v66, v28, v65
	v_sub_f32_e32 v65, v18, v72
	v_sub_f32_e32 v72, v71, v88
	v_add_f32_e32 v71, v93, v73
	ds_read2_b32 v[93:94], v95 offset0:157 offset1:206
	ds_read2_b32 v[132:133], v83 offset0:111 offset1:160
	;; [unrolled: 1-line block ×3, first 2 shown]
	v_fmac_f32_e32 v119, 0xbee1c552, v58
	v_sub_f32_e32 v54, v22, v119
	v_add_f32_e32 v73, v119, v22
	s_waitcnt vmcnt(2)
	v_mul_f32_e32 v18, v128, v92
	s_waitcnt vmcnt(0) lgkmcnt(2)
	v_mul_f32_e32 v22, v80, v94
	s_waitcnt lgkmcnt(1)
	v_mul_f32_e32 v83, v118, v133
	v_mul_f32_e32 v82, v116, v110
	s_waitcnt lgkmcnt(0)
	v_mul_f32_e32 v86, v130, v135
	v_mul_f32_e32 v88, v78, v131
	v_fmac_f32_e32 v18, v59, v127
	v_fmac_f32_e32 v22, v47, v79
	;; [unrolled: 1-line block ×6, first 2 shown]
	v_add_f32_e32 v75, v75, v85
	v_sub_f32_e32 v28, v18, v22
	v_sub_f32_e32 v58, v83, v82
	v_sub_f32_e32 v96, v86, v88
	v_add_f32_e32 v55, v112, v75
	v_sub_f32_e32 v74, v75, v112
	v_sub_f32_e32 v85, v28, v58
	v_sub_f32_e32 v75, v58, v96
	v_add_f32_e32 v58, v58, v96
	v_mul_f32_e32 v123, 0x3f08b237, v75
	v_add_f32_e32 v125, v28, v58
	v_mul_f32_e32 v58, v59, v128
	v_mul_f32_e32 v57, v57, v116
	v_mul_i32_i24_e32 v75, 6, v109
	v_mul_f32_e32 v47, v47, v80
	v_fma_f32 v59, v127, v92, -v58
	v_fma_f32 v80, v115, v110, -v57
	v_lshlrev_b64 v[57:58], 3, v[75:76]
	v_mul_f32_e32 v45, v45, v118
	v_add_co_u32_e32 v57, vcc, s12, v57
	v_addc_co_u32_e32 v58, vcc, v102, v58, vcc
	v_fma_f32 v45, v117, v133, -v45
	global_load_dwordx4 v[109:112], v[57:58], off offset:2688
	global_load_dwordx4 v[119:122], v[57:58], off offset:2704
	;; [unrolled: 1-line block ×3, first 2 shown]
	v_mul_f32_e32 v53, v53, v78
	v_mul_f32_e32 v43, v43, v130
	v_fma_f32 v47, v79, v94, -v47
	v_fma_f32 v53, v77, v131, -v53
	;; [unrolled: 1-line block ×3, first 2 shown]
	v_add_f32_e32 v79, v59, v47
	v_add_f32_e32 v75, v43, v53
	;; [unrolled: 1-line block ×5, first 2 shown]
	v_sub_f32_e32 v94, v79, v92
	v_sub_f32_e32 v77, v92, v75
	ds_read_b32 v92, v81
	v_add_f32_e32 v84, v84, v78
	v_mov_b32_e32 v81, v84
	v_add_f32_e32 v18, v18, v22
	v_add_f32_e32 v22, v83, v82
	;; [unrolled: 1-line block ×3, first 2 shown]
	v_mul_f32_e32 v127, 0x3d64c772, v77
	v_fmac_f32_e32 v81, 0xbf955555, v78
	v_sub_f32_e32 v78, v22, v82
	v_mov_b32_e32 v77, v127
	v_mul_f32_e32 v86, 0x3d64c772, v78
	v_fmac_f32_e32 v77, 0x3f4a47b2, v94
	v_sub_f32_e32 v57, v18, v22
	v_mov_b32_e32 v78, v86
	v_mul_f32_e32 v126, 0x3f4a47b2, v94
	v_add_f32_e32 v94, v77, v81
	v_mul_f32_e32 v77, 0x3f4a47b2, v57
	v_fmac_f32_e32 v78, 0x3f4a47b2, v57
	v_add_f32_e32 v57, v18, v82
	v_add_f32_e32 v22, v22, v57
	v_sub_f32_e32 v45, v45, v80
	v_sub_f32_e32 v43, v43, v53
	v_add_f32_e32 v83, v87, v22
	v_sub_f32_e32 v47, v59, v47
	v_sub_f32_e32 v53, v45, v43
	v_mov_b32_e32 v87, v83
	v_sub_f32_e32 v59, v47, v45
	v_mul_f32_e32 v53, 0x3f08b237, v53
	v_add_f32_e32 v45, v45, v43
	v_sub_f32_e32 v43, v43, v47
	v_fmac_f32_e32 v87, 0xbf955555, v22
	v_mov_b32_e32 v129, v53
	v_add_f32_e32 v45, v47, v45
	v_sub_f32_e32 v28, v96, v28
	v_sub_f32_e32 v75, v75, v79
	v_mul_f32_e32 v47, 0xbf5ff5aa, v43
	v_mov_b32_e32 v124, v123
	v_add_f32_e32 v22, v78, v87
	v_fmac_f32_e32 v129, 0xbeae86e6, v59
	v_mul_f32_e32 v78, 0xbf5ff5aa, v28
	v_fma_f32 v47, v59, s7, -v47
	v_fma_f32 v59, v75, s4, -v127
	ds_read2_b32 v[127:128], v99 offset0:185 offset1:234
	v_fmac_f32_e32 v124, 0xbeae86e6, v85
	v_fma_f32 v85, v85, s7, -v78
	v_fma_f32 v78, v75, s6, -v126
	v_fmac_f32_e32 v124, 0xbee1c552, v125
	v_fmac_f32_e32 v85, 0xbee1c552, v125
	v_add_f32_e32 v88, v78, v81
	v_sub_f32_e32 v18, v82, v18
	v_mul_i32_i24_e32 v75, 6, v108
	v_add_f32_e32 v58, v124, v94
	v_add_f32_e32 v78, v85, v88
	v_fma_f32 v77, v18, s6, -v77
	v_fma_f32 v28, v28, s5, -v123
	;; [unrolled: 1-line block ×4, first 2 shown]
	v_sub_f32_e32 v86, v88, v85
	v_sub_f32_e32 v88, v94, v124
	v_lshlrev_b64 v[123:124], 3, v[75:76]
	v_fmac_f32_e32 v129, 0xbee1c552, v45
	v_add_f32_e32 v59, v59, v81
	v_fmac_f32_e32 v28, 0xbee1c552, v125
	v_fmac_f32_e32 v43, 0xbee1c552, v45
	v_add_f32_e32 v18, v18, v87
	v_sub_f32_e32 v57, v22, v129
	v_add_f32_e32 v96, v77, v87
	v_sub_f32_e32 v80, v59, v28
	v_add_f32_e32 v79, v43, v18
	v_add_f32_e32 v82, v28, v59
	v_sub_f32_e32 v81, v18, v43
	v_add_f32_e32 v87, v129, v22
	s_waitcnt vmcnt(2) lgkmcnt(0)
	v_mul_f32_e32 v18, v110, v128
	v_add_co_u32_e32 v129, vcc, s12, v123
	s_waitcnt vmcnt(0)
	v_mul_f32_e32 v22, v118, v93
	v_mul_f32_e32 v59, v112, v134
	;; [unrolled: 1-line block ×3, first 2 shown]
	v_fmac_f32_e32 v18, v41, v109
	v_addc_co_u32_e32 v130, vcc, v102, v124, vcc
	v_fmac_f32_e32 v22, v46, v117
	v_fmac_f32_e32 v59, v42, v111
	v_fmac_f32_e32 v75, v37, v115
	v_mul_f32_e32 v46, v46, v118
	v_mul_f32_e32 v41, v41, v110
	;; [unrolled: 1-line block ×4, first 2 shown]
	global_load_dwordx4 v[123:126], v[129:130], off offset:2688
	v_fma_f32 v46, v117, v93, -v46
	v_fma_f32 v41, v109, v128, -v41
	;; [unrolled: 1-line block ×3, first 2 shown]
	global_load_dwordx4 v[115:118], v[129:130], off offset:2720
	v_fma_f32 v112, v111, v134, -v42
	global_load_dwordx4 v[108:111], v[129:130], off offset:2704
	ds_read2_b32 v[135:136], v105 offset0:103 offset1:152
	v_fmac_f32_e32 v47, 0xbee1c552, v45
	v_mul_f32_e32 v43, v122, v132
	v_fmac_f32_e32 v43, v44, v121
	v_mul_f32_e32 v44, v44, v122
	s_waitcnt lgkmcnt(0)
	v_mul_f32_e32 v45, v120, v136
	v_fmac_f32_e32 v45, v39, v119
	v_mul_f32_e32 v39, v39, v120
	v_fma_f32 v39, v119, v136, -v39
	v_fma_f32 v44, v121, v132, -v44
	v_add_f32_e32 v119, v44, v39
	v_add_f32_e32 v122, v112, v37
	v_sub_f32_e32 v42, v119, v122
	v_sub_f32_e32 v28, v18, v22
	;; [unrolled: 1-line block ×3, first 2 shown]
	v_add_f32_e32 v93, v41, v46
	v_mul_f32_e32 v128, 0x3d64c772, v42
	v_add_f32_e32 v18, v18, v22
	v_add_f32_e32 v22, v43, v45
	v_add_f32_e32 v59, v59, v75
	v_sub_f32_e32 v120, v93, v119
	v_mov_b32_e32 v42, v128
	v_sub_f32_e32 v75, v22, v59
	v_mul_f32_e32 v121, 0x3f4a47b2, v120
	v_fmac_f32_e32 v42, 0x3f4a47b2, v120
	v_add_f32_e32 v120, v93, v122
	v_mul_f32_e32 v75, 0x3d64c772, v75
	v_sub_f32_e32 v77, v96, v47
	v_add_f32_e32 v85, v47, v96
	v_sub_f32_e32 v47, v43, v45
	v_add_f32_e32 v119, v119, v120
	v_sub_f32_e32 v43, v18, v22
	v_mov_b32_e32 v120, v75
	v_mul_f32_e32 v45, 0x3f4a47b2, v43
	v_fmac_f32_e32 v120, 0x3f4a47b2, v43
	v_add_f32_e32 v43, v18, v59
	v_add_f32_e32 v22, v22, v43
	;; [unrolled: 1-line block ×3, first 2 shown]
	v_sub_f32_e32 v53, v28, v47
	v_sub_f32_e32 v94, v47, v90
	v_add_f32_e32 v47, v47, v90
	v_mov_b32_e32 v129, v91
	v_sub_f32_e32 v18, v59, v18
	v_add_f32_e32 v47, v28, v47
	v_fmac_f32_e32 v129, 0xbf955555, v22
	v_sub_f32_e32 v39, v44, v39
	v_sub_f32_e32 v37, v112, v37
	;; [unrolled: 1-line block ×4, first 2 shown]
	v_fma_f32 v45, v18, s6, -v45
	v_fma_f32 v18, v18, s4, -v75
	v_add_f32_e32 v22, v120, v129
	v_sub_f32_e32 v43, v41, v46
	v_sub_f32_e32 v41, v39, v37
	v_add_f32_e32 v59, v45, v129
	v_fma_f32 v45, v90, s4, -v128
	v_add_f32_e32 v18, v18, v129
	ds_read2_b32 v[128:129], v95 offset0:59 offset1:108
	ds_read2_b32 v[130:131], v98 offset0:141 offset1:190
	;; [unrolled: 1-line block ×3, first 2 shown]
	v_mul_f32_e32 v94, 0x3f08b237, v94
	v_add_f32_e32 v92, v92, v119
	v_sub_f32_e32 v46, v43, v39
	v_mul_f32_e32 v112, 0x3f08b237, v41
	v_add_f32_e32 v39, v39, v37
	v_sub_f32_e32 v37, v37, v43
	v_mov_b32_e32 v96, v94
	ds_read_b32 v134, v89
	v_mov_b32_e32 v89, v92
	v_mov_b32_e32 v120, v112
	v_add_f32_e32 v39, v43, v39
	v_mul_f32_e32 v44, 0xbf5ff5aa, v28
	v_mul_f32_e32 v43, 0xbf5ff5aa, v37
	v_fmac_f32_e32 v96, 0xbeae86e6, v53
	v_fmac_f32_e32 v89, 0xbf955555, v119
	v_fmac_f32_e32 v120, 0xbeae86e6, v46
	v_fma_f32 v53, v53, s7, -v44
	v_fma_f32 v44, v90, s6, -v121
	v_fma_f32 v121, v46, s7, -v43
	v_fma_f32 v28, v28, s5, -v94
	v_fma_f32 v37, v37, s5, -v112
	v_add_f32_e32 v119, v42, v89
	v_fmac_f32_e32 v120, 0xbee1c552, v39
	v_fmac_f32_e32 v53, 0xbee1c552, v47
	v_add_f32_e32 v93, v44, v89
	v_fmac_f32_e32 v121, 0xbee1c552, v39
	v_add_f32_e32 v89, v45, v89
	v_fmac_f32_e32 v28, 0xbee1c552, v47
	v_fmac_f32_e32 v37, 0xbee1c552, v39
	;; [unrolled: 1-line block ×3, first 2 shown]
	v_sub_f32_e32 v41, v22, v120
	v_add_f32_e32 v44, v53, v93
	v_sub_f32_e32 v43, v59, v121
	v_sub_f32_e32 v46, v89, v28
	v_add_f32_e32 v45, v37, v18
	v_add_f32_e32 v90, v28, v89
	v_sub_f32_e32 v89, v18, v37
	v_sub_f32_e32 v94, v93, v53
	v_add_f32_e32 v93, v121, v59
	v_add_f32_e32 v95, v120, v22
	s_waitcnt vmcnt(2)
	v_mul_f32_e32 v18, v124, v127
	s_waitcnt vmcnt(1) lgkmcnt(3)
	v_mul_f32_e32 v22, v118, v129
	s_waitcnt vmcnt(0) lgkmcnt(2)
	v_mul_f32_e32 v39, v111, v131
	v_mul_f32_e32 v47, v109, v135
	s_waitcnt lgkmcnt(1)
	v_mul_f32_e32 v59, v126, v133
	v_mul_f32_e32 v100, v116, v137
	v_fmac_f32_e32 v18, v40, v123
	v_fmac_f32_e32 v22, v35, v117
	;; [unrolled: 1-line block ×6, first 2 shown]
	v_sub_f32_e32 v28, v18, v22
	v_sub_f32_e32 v37, v39, v47
	;; [unrolled: 1-line block ×5, first 2 shown]
	v_add_f32_e32 v37, v37, v112
	v_add_f32_e32 v139, v28, v37
	v_mul_f32_e32 v37, v40, v124
	v_mul_f32_e32 v136, 0x3f08b237, v75
	v_fma_f32 v40, v123, v127, -v37
	v_mul_f32_e32 v37, v38, v109
	v_mul_i32_i24_e32 v75, 6, v107
	v_fma_f32 v127, v108, v135, -v37
	v_lshlrev_b64 v[37:38], 3, v[75:76]
	v_mul_f32_e32 v35, v35, v118
	v_add_co_u32_e32 v37, vcc, s12, v37
	v_mul_f32_e32 v33, v33, v111
	v_addc_co_u32_e32 v38, vcc, v102, v38, vcc
	v_add_f32_e32 v42, v96, v119
	v_sub_f32_e32 v96, v119, v96
	v_fma_f32 v35, v117, v129, -v35
	v_fma_f32 v33, v110, v131, -v33
	global_load_dwordx4 v[107:110], v[37:38], off offset:2688
	global_load_dwordx4 v[120:123], v[37:38], off offset:2704
	v_mul_f32_e32 v36, v36, v116
	global_load_dwordx4 v[116:119], v[37:38], off offset:2720
	v_mul_f32_e32 v31, v31, v126
	v_fma_f32 v75, v115, v137, -v36
	v_fma_f32 v31, v125, v133, -v31
	v_add_f32_e32 v124, v40, v35
	v_add_f32_e32 v37, v31, v75
	;; [unrolled: 1-line block ×8, first 2 shown]
	v_sub_f32_e32 v111, v124, v98
	v_sub_f32_e32 v36, v98, v37
	s_waitcnt lgkmcnt(0)
	v_add_f32_e32 v98, v134, v38
	v_sub_f32_e32 v59, v22, v47
	v_mov_b32_e32 v102, v98
	v_mul_f32_e32 v59, 0x3d64c772, v59
	v_fmac_f32_e32 v102, 0xbf955555, v38
	v_sub_f32_e32 v38, v18, v22
	v_mov_b32_e32 v100, v59
	v_mul_f32_e32 v39, 0x3f4a47b2, v38
	v_fmac_f32_e32 v100, 0x3f4a47b2, v38
	v_add_f32_e32 v38, v18, v47
	v_add_f32_e32 v22, v22, v38
	v_mul_f32_e32 v76, 0x3d64c772, v36
	ds_read_b32 v126, v97
	v_add_f32_e32 v97, v101, v22
	v_sub_f32_e32 v33, v33, v127
	v_sub_f32_e32 v31, v31, v75
	v_mov_b32_e32 v36, v76
	v_mov_b32_e32 v101, v97
	v_sub_f32_e32 v40, v40, v35
	v_sub_f32_e32 v35, v33, v31
	v_mul_f32_e32 v129, 0x3f4a47b2, v111
	v_fmac_f32_e32 v36, 0x3f4a47b2, v111
	v_fmac_f32_e32 v101, 0xbf955555, v22
	v_mul_f32_e32 v75, 0x3f08b237, v35
	v_sub_f32_e32 v28, v112, v28
	v_sub_f32_e32 v111, v37, v124
	v_mov_b32_e32 v138, v136
	v_add_f32_e32 v22, v100, v101
	v_sub_f32_e32 v100, v40, v33
	v_mov_b32_e32 v125, v75
	v_add_f32_e32 v33, v33, v31
	v_mul_f32_e32 v38, 0xbf5ff5aa, v28
	v_fma_f32 v37, v111, s6, -v129
	v_sub_f32_e32 v18, v47, v18
	v_fmac_f32_e32 v138, 0xbeae86e6, v53
	v_fmac_f32_e32 v125, 0xbeae86e6, v100
	v_add_f32_e32 v33, v40, v33
	v_fma_f32 v53, v53, s7, -v38
	v_add_f32_e32 v124, v37, v102
	v_fma_f32 v37, v18, s6, -v39
	v_sub_f32_e32 v31, v31, v40
	v_fmac_f32_e32 v125, 0xbee1c552, v33
	v_fmac_f32_e32 v53, 0xbee1c552, v139
	v_add_f32_e32 v47, v37, v101
	v_mul_f32_e32 v37, 0xbf5ff5aa, v31
	v_fma_f32 v18, v18, s4, -v59
	v_sub_f32_e32 v35, v22, v125
	v_add_f32_e32 v38, v53, v124
	v_fma_f32 v127, v100, s7, -v37
	v_fma_f32 v39, v111, s4, -v76
	v_add_f32_e32 v18, v18, v101
	ds_read2_b32 v[111:112], v99 offset0:87 offset1:136
	v_sub_f32_e32 v100, v124, v53
	v_add_f32_e32 v101, v125, v22
	ds_read2_b32 v[124:125], v105 offset0:5 offset1:54
	ds_read2_b32 v[104:105], v104 offset0:179 offset1:228
	v_fma_f32 v31, v31, s5, -v75
	v_fmac_f32_e32 v127, 0xbee1c552, v33
	v_fmac_f32_e32 v31, 0xbee1c552, v33
	v_sub_f32_e32 v37, v47, v127
	v_add_f32_e32 v76, v39, v102
	v_add_f32_e32 v39, v31, v18
	v_sub_f32_e32 v75, v18, v31
	v_add_f32_e32 v99, v127, v47
	s_waitcnt vmcnt(2) lgkmcnt(2)
	v_mul_f32_e32 v18, v108, v112
	s_waitcnt vmcnt(1)
	v_mul_f32_e32 v59, v123, v130
	s_waitcnt vmcnt(0)
	v_mul_f32_e32 v47, v119, v128
	s_waitcnt lgkmcnt(1)
	v_mul_f32_e32 v127, v121, v125
	v_mul_f32_e32 v131, v110, v132
	s_waitcnt lgkmcnt(0)
	v_mul_f32_e32 v133, v117, v105
	v_fma_f32 v28, v28, s5, -v136
	v_fmac_f32_e32 v18, v27, v107
	v_fmac_f32_e32 v47, v34, v118
	;; [unrolled: 1-line block ×7, first 2 shown]
	v_sub_f32_e32 v53, v18, v47
	v_sub_f32_e32 v22, v59, v127
	;; [unrolled: 1-line block ×4, first 2 shown]
	v_add_f32_e32 v76, v28, v76
	v_sub_f32_e32 v129, v53, v22
	v_sub_f32_e32 v28, v22, v134
	v_add_f32_e32 v22, v22, v134
	v_add_f32_e32 v137, v53, v22
	v_mul_f32_e32 v22, v34, v119
	v_fma_f32 v119, v118, v128, -v22
	v_mul_f32_e32 v22, v27, v108
	v_fma_f32 v27, v107, v112, -v22
	v_mul_f32_e32 v22, v25, v121
	v_fmac_f32_e32 v138, 0xbee1c552, v139
	v_add_f32_e32 v115, v36, v102
	v_fma_f32 v25, v120, v125, -v22
	v_mul_f32_e32 v22, v32, v123
	global_load_dwordx4 v[31:34], v[69:70], off offset:2688
	v_mul_f32_e32 v21, v21, v117
	v_add_f32_e32 v36, v138, v115
	v_sub_f32_e32 v102, v115, v138
	v_fma_f32 v105, v116, v105, -v21
	global_load_dwordx4 v[115:118], v[69:70], off offset:2704
	v_mul_f32_e32 v21, v30, v110
	v_fma_f32 v108, v122, v130, -v22
	v_fma_f32 v30, v109, v132, -v21
	v_add_f32_e32 v22, v108, v25
	v_add_f32_e32 v69, v30, v105
	v_sub_f32_e32 v21, v22, v69
	v_add_f32_e32 v107, v27, v119
	v_mul_f32_e32 v109, 0x3d64c772, v21
	v_mul_f32_e32 v135, 0x3f08b237, v28
	v_sub_f32_e32 v28, v107, v22
	v_mov_b32_e32 v21, v109
	v_mul_f32_e32 v112, 0x3f4a47b2, v28
	v_fmac_f32_e32 v21, 0x3f4a47b2, v28
	v_add_f32_e32 v28, v107, v69
	v_add_f32_e32 v28, v22, v28
	;; [unrolled: 1-line block ×3, first 2 shown]
	v_mov_b32_e32 v110, v22
	v_fmac_f32_e32 v110, 0xbf955555, v28
	v_add_f32_e32 v121, v21, v110
	v_add_f32_e32 v21, v59, v127
	;; [unrolled: 1-line block ×3, first 2 shown]
	v_sub_f32_e32 v70, v21, v120
	v_add_f32_e32 v18, v18, v47
	v_mul_f32_e32 v122, 0x3d64c772, v70
	v_sub_f32_e32 v47, v18, v21
	v_mov_b32_e32 v70, v122
	v_mul_f32_e32 v59, 0x3f4a47b2, v47
	v_fmac_f32_e32 v70, 0x3f4a47b2, v47
	v_add_f32_e32 v47, v18, v120
	v_add_f32_e32 v47, v21, v47
	v_sub_f32_e32 v25, v108, v25
	v_sub_f32_e32 v30, v30, v105
	v_add_f32_e32 v21, v114, v47
	v_sub_f32_e32 v119, v27, v119
	v_sub_f32_e32 v27, v25, v30
	v_sub_f32_e32 v107, v69, v107
	v_mov_b32_e32 v114, v21
	v_sub_f32_e32 v108, v119, v25
	v_mul_f32_e32 v105, 0x3f08b237, v27
	v_add_f32_e32 v25, v25, v30
	v_fma_f32 v69, v107, s6, -v112
	v_sub_f32_e32 v30, v30, v119
	v_fmac_f32_e32 v114, 0xbf955555, v47
	v_mov_b32_e32 v123, v105
	v_sub_f32_e32 v53, v134, v53
	v_add_f32_e32 v112, v69, v110
	v_sub_f32_e32 v18, v120, v18
	v_mul_f32_e32 v69, 0xbf5ff5aa, v30
	v_add_f32_e32 v47, v70, v114
	v_fmac_f32_e32 v123, 0xbeae86e6, v108
	v_add_f32_e32 v25, v119, v25
	v_mul_f32_e32 v70, 0xbf5ff5aa, v53
	v_fma_f32 v59, v18, s6, -v59
	v_fma_f32 v119, v108, s7, -v69
	;; [unrolled: 1-line block ×6, first 2 shown]
	v_mov_b32_e32 v136, v135
	v_fmac_f32_e32 v123, 0xbee1c552, v25
	v_fmac_f32_e32 v119, 0xbee1c552, v25
	v_add_f32_e32 v109, v107, v110
	v_fmac_f32_e32 v53, 0xbee1c552, v137
	v_fmac_f32_e32 v30, 0xbee1c552, v25
	v_add_f32_e32 v18, v18, v114
	v_mul_f32_e32 v25, v15, v62
	v_mul_f32_e32 v15, v29, v15
	v_fmac_f32_e32 v136, 0xbeae86e6, v129
	v_sub_f32_e32 v108, v109, v53
	v_add_f32_e32 v107, v30, v18
	v_add_f32_e32 v110, v53, v109
	v_sub_f32_e32 v109, v18, v30
	v_fmac_f32_e32 v25, v29, v14
	v_fma_f32 v29, v14, v62, -v15
	s_waitcnt vmcnt(1)
	v_mul_f32_e32 v18, v32, v111
	v_mul_f32_e32 v14, v26, v32
	v_fmac_f32_e32 v136, 0xbee1c552, v137
	v_add_f32_e32 v59, v59, v114
	v_fmac_f32_e32 v18, v26, v31
	s_waitcnt vmcnt(0)
	v_mul_f32_e32 v53, v116, v124
	v_mul_f32_e32 v114, v13, v104
	v_fma_f32 v26, v31, v111, -v14
	v_mul_f32_e32 v14, v24, v116
	v_mul_f32_e32 v13, v20, v13
	v_add_f32_e32 v28, v136, v121
	v_sub_f32_e32 v27, v47, v123
	v_fma_f32 v125, v129, s7, -v70
	v_sub_f32_e32 v122, v121, v136
	v_add_f32_e32 v121, v123, v47
	v_mul_f32_e32 v47, v118, v56
	v_fmac_f32_e32 v53, v24, v115
	v_fmac_f32_e32 v114, v20, v12
	v_fma_f32 v24, v115, v124, -v14
	v_mul_f32_e32 v14, v23, v118
	v_fma_f32 v12, v12, v104, -v13
	v_mul_f32_e32 v13, v19, v34
	v_fmac_f32_e32 v125, 0xbee1c552, v137
	v_fmac_f32_e32 v47, v23, v117
	v_fma_f32 v23, v117, v56, -v14
	v_fma_f32 v13, v33, v52, -v13
	v_add_f32_e32 v70, v125, v112
	v_sub_f32_e32 v120, v112, v125
	v_mul_f32_e32 v112, v34, v52
	v_add_f32_e32 v14, v23, v24
	v_add_f32_e32 v20, v13, v12
	v_fmac_f32_e32 v112, v19, v33
	v_sub_f32_e32 v19, v14, v20
	v_add_f32_e32 v31, v26, v29
	v_mul_f32_e32 v33, 0x3d64c772, v19
	v_sub_f32_e32 v15, v31, v14
	v_mov_b32_e32 v19, v33
	v_mul_f32_e32 v32, 0x3f4a47b2, v15
	v_fmac_f32_e32 v19, 0x3f4a47b2, v15
	v_add_f32_e32 v15, v31, v20
	v_add_f32_e32 v14, v14, v15
	;; [unrolled: 1-line block ×3, first 2 shown]
	v_mov_b32_e32 v34, v15
	v_sub_f32_e32 v69, v59, v119
	v_add_f32_e32 v119, v119, v59
	v_sub_f32_e32 v59, v47, v53
	v_fmac_f32_e32 v34, 0xbf955555, v14
	v_add_f32_e32 v14, v47, v53
	v_add_f32_e32 v53, v112, v114
	v_sub_f32_e32 v56, v14, v53
	v_sub_f32_e32 v30, v18, v25
	v_add_f32_e32 v25, v18, v25
	v_mul_f32_e32 v56, 0x3d64c772, v56
	v_sub_f32_e32 v18, v25, v14
	v_mov_b32_e32 v62, v56
	v_mul_f32_e32 v47, 0x3f4a47b2, v18
	v_fmac_f32_e32 v62, 0x3f4a47b2, v18
	v_add_f32_e32 v18, v25, v53
	v_add_f32_e32 v18, v14, v18
	;; [unrolled: 1-line block ×3, first 2 shown]
	v_mov_b32_e32 v103, v14
	v_fmac_f32_e32 v103, 0xbf955555, v18
	v_sub_f32_e32 v18, v23, v24
	v_sub_f32_e32 v12, v13, v12
	;; [unrolled: 1-line block ×5, first 2 shown]
	v_mul_f32_e32 v13, 0x3f08b237, v13
	v_add_f32_e32 v18, v18, v12
	v_sub_f32_e32 v12, v12, v26
	v_mov_b32_e32 v104, v13
	v_add_f32_e32 v29, v26, v18
	v_mul_f32_e32 v26, 0xbf5ff5aa, v12
	v_fma_f32 v12, v12, s5, -v13
	v_mul_hi_u32 v13, v106, s0
	v_sub_f32_e32 v123, v112, v114
	v_sub_f32_e32 v105, v30, v59
	;; [unrolled: 1-line block ×3, first 2 shown]
	v_add_f32_e32 v59, v59, v123
	v_lshrrev_b32_e32 v13, 8, v13
	v_mul_f32_e32 v125, 0x3f08b237, v125
	v_add_f32_e32 v59, v30, v59
	v_sub_f32_e32 v30, v123, v30
	v_sub_f32_e32 v25, v53, v25
	v_mul_u32_u24_e32 v13, 0x157, v13
	v_mov_b32_e32 v126, v125
	v_fmac_f32_e32 v104, 0xbeae86e6, v23
	v_mul_f32_e32 v24, 0xbf5ff5aa, v30
	v_sub_f32_e32 v20, v20, v31
	v_fma_f32 v31, v25, s6, -v47
	v_fma_f32 v53, v23, s7, -v26
	;; [unrolled: 1-line block ×3, first 2 shown]
	v_sub_u32_e32 v56, v106, v13
	v_fmac_f32_e32 v126, 0xbeae86e6, v105
	v_fmac_f32_e32 v104, 0xbee1c552, v29
	v_fma_f32 v105, v105, s7, -v24
	v_fma_f32 v24, v20, s6, -v32
	v_add_f32_e32 v47, v31, v103
	v_fmac_f32_e32 v53, 0xbee1c552, v29
	v_fma_f32 v20, v20, s4, -v33
	v_fma_f32 v31, v30, s5, -v125
	v_fmac_f32_e32 v12, 0xbee1c552, v29
	v_mad_u64_u32 v[29:30], s[4:5], s2, v56, 0
	v_add_f32_e32 v20, v20, v34
	v_fmac_f32_e32 v31, 0xbee1c552, v59
	v_add_f32_e32 v33, v25, v103
	v_sub_f32_e32 v26, v20, v31
	v_add_f32_e32 v25, v12, v33
	v_add_f32_e32 v32, v31, v20
	v_sub_f32_e32 v31, v33, v12
	v_mov_b32_e32 v12, v30
	v_mad_u64_u32 v[12:13], s[4:5], s3, v56, v[12:13]
	v_sub_f32_e32 v23, v47, v53
	v_add_f32_e32 v33, v53, v47
	v_mov_b32_e32 v30, v12
	v_lshlrev_b64 v[12:13], 3, v[48:49]
	v_mov_b32_e32 v20, s11
	v_add_co_u32_e32 v47, vcc, s10, v12
	v_add_u32_e32 v48, 0x157, v56
	v_addc_co_u32_e32 v20, vcc, v20, v13, vcc
	v_lshlrev_b64 v[12:13], 3, v[16:17]
	v_mad_u64_u32 v[16:17], s[4:5], s2, v48, 0
	v_add_f32_e32 v62, v62, v103
	v_sub_f32_e32 v18, v62, v104
	v_add_co_u32_e32 v12, vcc, v47, v12
	v_mad_u64_u32 v[47:48], s[4:5], s3, v48, v[17:18]
	v_lshlrev_b64 v[29:30], 3, v[29:30]
	v_addc_co_u32_e32 v13, vcc, v20, v13, vcc
	v_add_co_u32_e32 v29, vcc, v12, v29
	v_addc_co_u32_e32 v30, vcc, v13, v30, vcc
	v_mov_b32_e32 v17, v47
	v_add_u32_e32 v20, 0x2ae, v56
	global_store_dwordx2 v[29:30], v[14:15], off
	v_lshlrev_b64 v[14:15], 3, v[16:17]
	v_mad_u64_u32 v[16:17], s[4:5], s2, v20, 0
	v_fmac_f32_e32 v126, 0xbee1c552, v59
	v_add_f32_e32 v52, v19, v34
	v_mad_u64_u32 v[29:30], s[4:5], s3, v20, v[17:18]
	v_add_u32_e32 v20, 0x405, v56
	v_mad_u64_u32 v[47:48], s[4:5], s2, v20, 0
	v_add_co_u32_e32 v14, vcc, v12, v14
	v_add_f32_e32 v19, v126, v52
	v_sub_f32_e32 v53, v52, v126
	v_add_f32_e32 v52, v104, v62
	v_addc_co_u32_e32 v15, vcc, v13, v15, vcc
	v_mov_b32_e32 v17, v29
	global_store_dwordx2 v[14:15], v[52:53], off
	v_lshlrev_b64 v[14:15], 3, v[16:17]
	v_mov_b32_e32 v16, v48
	v_mad_u64_u32 v[16:17], s[4:5], s3, v20, v[16:17]
	v_add_u32_e32 v20, 0x55c, v56
	v_fmac_f32_e32 v105, 0xbee1c552, v59
	v_mov_b32_e32 v48, v16
	v_mad_u64_u32 v[16:17], s[4:5], s2, v20, 0
	v_add_f32_e32 v111, v24, v34
	v_add_co_u32_e32 v14, vcc, v12, v14
	v_sub_f32_e32 v34, v111, v105
	v_addc_co_u32_e32 v15, vcc, v13, v15, vcc
	v_mad_u64_u32 v[29:30], s[4:5], s3, v20, v[17:18]
	v_add_u32_e32 v20, 0x6b3, v56
	global_store_dwordx2 v[14:15], v[33:34], off
	v_lshlrev_b64 v[14:15], 3, v[47:48]
	v_mad_u64_u32 v[33:34], s[4:5], s2, v20, 0
	v_add_co_u32_e32 v14, vcc, v12, v14
	v_addc_co_u32_e32 v15, vcc, v13, v15, vcc
	v_mov_b32_e32 v17, v29
	global_store_dwordx2 v[14:15], v[31:32], off
	v_lshlrev_b64 v[14:15], 3, v[16:17]
	v_mov_b32_e32 v16, v34
	v_mad_u64_u32 v[16:17], s[4:5], s3, v20, v[16:17]
	v_add_u32_e32 v20, 0x80a, v56
	v_add_co_u32_e32 v14, vcc, v12, v14
	v_mov_b32_e32 v34, v16
	v_mad_u64_u32 v[16:17], s[4:5], s2, v20, 0
	v_addc_co_u32_e32 v15, vcc, v13, v15, vcc
	global_store_dwordx2 v[14:15], v[25:26], off
	v_mad_u64_u32 v[25:26], s[4:5], s3, v20, v[17:18]
	v_add_u32_e32 v20, 49, v106
	v_lshlrev_b64 v[14:15], 3, v[33:34]
	v_mul_hi_u32 v26, v20, s0
	v_add_co_u32_e32 v14, vcc, v12, v14
	v_add_f32_e32 v24, v105, v111
	v_addc_co_u32_e32 v15, vcc, v13, v15, vcc
	v_mov_b32_e32 v17, v25
	global_store_dwordx2 v[14:15], v[23:24], off
	v_lshlrev_b64 v[14:15], 3, v[16:17]
	v_lshrrev_b32_e32 v16, 8, v26
	v_mul_u32_u24_e32 v17, 0x157, v16
	v_sub_u32_e32 v17, v20, v17
	v_mad_u32_u24 v20, v16, s1, v17
	v_mad_u64_u32 v[16:17], s[4:5], s2, v20, 0
	v_add_u32_e32 v26, 0x157, v20
	v_add_co_u32_e32 v14, vcc, v12, v14
	v_mad_u64_u32 v[23:24], s[4:5], s3, v20, v[17:18]
	v_mad_u64_u32 v[24:25], s[4:5], s2, v26, 0
	v_addc_co_u32_e32 v15, vcc, v13, v15, vcc
	v_mov_b32_e32 v17, v23
	global_store_dwordx2 v[14:15], v[18:19], off
	v_lshlrev_b64 v[14:15], 3, v[16:17]
	v_mov_b32_e32 v16, v25
	v_mad_u64_u32 v[16:17], s[4:5], s3, v26, v[16:17]
	v_add_u32_e32 v18, 0x2ae, v20
	v_add_co_u32_e32 v14, vcc, v12, v14
	v_mov_b32_e32 v25, v16
	v_mad_u64_u32 v[16:17], s[4:5], s2, v18, 0
	v_addc_co_u32_e32 v15, vcc, v13, v15, vcc
	global_store_dwordx2 v[14:15], v[21:22], off
	v_mad_u64_u32 v[17:18], s[4:5], s3, v18, v[17:18]
	v_add_u32_e32 v21, 0x405, v20
	v_lshlrev_b64 v[14:15], 3, v[24:25]
	v_mad_u64_u32 v[18:19], s[4:5], s2, v21, 0
	v_add_co_u32_e32 v14, vcc, v12, v14
	v_addc_co_u32_e32 v15, vcc, v13, v15, vcc
	global_store_dwordx2 v[14:15], v[121:122], off
	v_lshlrev_b64 v[14:15], 3, v[16:17]
	v_mov_b32_e32 v16, v19
	v_mad_u64_u32 v[16:17], s[4:5], s3, v21, v[16:17]
	v_add_co_u32_e32 v14, vcc, v12, v14
	v_addc_co_u32_e32 v15, vcc, v13, v15, vcc
	v_mov_b32_e32 v19, v16
	global_store_dwordx2 v[14:15], v[119:120], off
	v_lshlrev_b64 v[14:15], 3, v[18:19]
	v_add_u32_e32 v18, 0x55c, v20
	v_mad_u64_u32 v[16:17], s[4:5], s2, v18, 0
	v_add_u32_e32 v21, 0x6b3, v20
	v_add_co_u32_e32 v14, vcc, v12, v14
	v_mad_u64_u32 v[17:18], s[4:5], s3, v18, v[17:18]
	v_mad_u64_u32 v[18:19], s[4:5], s2, v21, 0
	v_addc_co_u32_e32 v15, vcc, v13, v15, vcc
	global_store_dwordx2 v[14:15], v[109:110], off
	v_lshlrev_b64 v[14:15], 3, v[16:17]
	v_mov_b32_e32 v16, v19
	v_mad_u64_u32 v[16:17], s[4:5], s3, v21, v[16:17]
	v_add_co_u32_e32 v14, vcc, v12, v14
	v_addc_co_u32_e32 v15, vcc, v13, v15, vcc
	v_mov_b32_e32 v19, v16
	global_store_dwordx2 v[14:15], v[107:108], off
	v_lshlrev_b64 v[14:15], 3, v[18:19]
	v_add_u32_e32 v18, 0x80a, v20
	v_mad_u64_u32 v[16:17], s[4:5], s2, v18, 0
	v_add_co_u32_e32 v14, vcc, v12, v14
	v_mad_u64_u32 v[17:18], s[4:5], s3, v18, v[17:18]
	v_add_u32_e32 v18, 0x62, v106
	v_mul_hi_u32 v19, v18, s0
	v_addc_co_u32_e32 v15, vcc, v13, v15, vcc
	global_store_dwordx2 v[14:15], v[69:70], off
	v_lshlrev_b64 v[14:15], 3, v[16:17]
	v_lshrrev_b32_e32 v16, 8, v19
	v_mul_u32_u24_e32 v17, 0x157, v16
	v_sub_u32_e32 v17, v18, v17
	v_mad_u32_u24 v20, v16, s1, v17
	v_mad_u64_u32 v[16:17], s[4:5], s2, v20, 0
	v_add_u32_e32 v21, 0x157, v20
	v_add_co_u32_e32 v14, vcc, v12, v14
	v_mad_u64_u32 v[17:18], s[4:5], s3, v20, v[17:18]
	v_mad_u64_u32 v[18:19], s[4:5], s2, v21, 0
	v_addc_co_u32_e32 v15, vcc, v13, v15, vcc
	global_store_dwordx2 v[14:15], v[27:28], off
	v_lshlrev_b64 v[14:15], 3, v[16:17]
	v_mov_b32_e32 v16, v19
	v_mad_u64_u32 v[16:17], s[4:5], s3, v21, v[16:17]
	v_add_co_u32_e32 v14, vcc, v12, v14
	v_addc_co_u32_e32 v15, vcc, v13, v15, vcc
	v_mov_b32_e32 v19, v16
	global_store_dwordx2 v[14:15], v[97:98], off
	v_lshlrev_b64 v[14:15], 3, v[18:19]
	v_add_u32_e32 v18, 0x2ae, v20
	v_mad_u64_u32 v[16:17], s[4:5], s2, v18, 0
	v_add_u32_e32 v21, 0x405, v20
	v_add_co_u32_e32 v14, vcc, v12, v14
	v_mad_u64_u32 v[17:18], s[4:5], s3, v18, v[17:18]
	v_mad_u64_u32 v[18:19], s[4:5], s2, v21, 0
	v_addc_co_u32_e32 v15, vcc, v13, v15, vcc
	global_store_dwordx2 v[14:15], v[101:102], off
	v_lshlrev_b64 v[14:15], 3, v[16:17]
	v_mov_b32_e32 v16, v19
	v_mad_u64_u32 v[16:17], s[4:5], s3, v21, v[16:17]
	v_add_co_u32_e32 v14, vcc, v12, v14
	v_addc_co_u32_e32 v15, vcc, v13, v15, vcc
	v_mov_b32_e32 v19, v16
	global_store_dwordx2 v[14:15], v[99:100], off
	v_lshlrev_b64 v[14:15], 3, v[18:19]
	v_add_u32_e32 v18, 0x55c, v20
	v_mad_u64_u32 v[16:17], s[4:5], s2, v18, 0
	v_add_u32_e32 v21, 0x6b3, v20
	v_add_co_u32_e32 v14, vcc, v12, v14
	v_mad_u64_u32 v[17:18], s[4:5], s3, v18, v[17:18]
	v_mad_u64_u32 v[18:19], s[4:5], s2, v21, 0
	v_addc_co_u32_e32 v15, vcc, v13, v15, vcc
	global_store_dwordx2 v[14:15], v[75:76], off
	v_lshlrev_b64 v[14:15], 3, v[16:17]
	v_mov_b32_e32 v16, v19
	v_mad_u64_u32 v[16:17], s[4:5], s3, v21, v[16:17]
	v_add_co_u32_e32 v14, vcc, v12, v14
	v_addc_co_u32_e32 v15, vcc, v13, v15, vcc
	v_mov_b32_e32 v19, v16
	global_store_dwordx2 v[14:15], v[39:40], off
	v_lshlrev_b64 v[14:15], 3, v[18:19]
	v_add_u32_e32 v18, 0x80a, v20
	v_mad_u64_u32 v[16:17], s[4:5], s2, v18, 0
	v_add_co_u32_e32 v14, vcc, v12, v14
	v_mad_u64_u32 v[17:18], s[4:5], s3, v18, v[17:18]
	v_add_u32_e32 v18, 0x93, v106
	v_mul_hi_u32 v19, v18, s0
	v_addc_co_u32_e32 v15, vcc, v13, v15, vcc
	global_store_dwordx2 v[14:15], v[37:38], off
	v_lshlrev_b64 v[14:15], 3, v[16:17]
	v_lshrrev_b32_e32 v16, 8, v19
	v_mul_u32_u24_e32 v17, 0x157, v16
	v_sub_u32_e32 v17, v18, v17
	v_mad_u32_u24 v20, v16, s1, v17
	v_mad_u64_u32 v[16:17], s[4:5], s2, v20, 0
	v_add_u32_e32 v21, 0x157, v20
	v_add_co_u32_e32 v14, vcc, v12, v14
	v_mad_u64_u32 v[17:18], s[4:5], s3, v20, v[17:18]
	v_mad_u64_u32 v[18:19], s[4:5], s2, v21, 0
	v_addc_co_u32_e32 v15, vcc, v13, v15, vcc
	global_store_dwordx2 v[14:15], v[35:36], off
	v_lshlrev_b64 v[14:15], 3, v[16:17]
	v_mov_b32_e32 v16, v19
	v_mad_u64_u32 v[16:17], s[4:5], s3, v21, v[16:17]
	v_add_co_u32_e32 v14, vcc, v12, v14
	v_addc_co_u32_e32 v15, vcc, v13, v15, vcc
	v_mov_b32_e32 v19, v16
	global_store_dwordx2 v[14:15], v[91:92], off
	v_lshlrev_b64 v[14:15], 3, v[18:19]
	v_add_u32_e32 v18, 0x2ae, v20
	v_mad_u64_u32 v[16:17], s[4:5], s2, v18, 0
	v_add_u32_e32 v21, 0x405, v20
	v_add_co_u32_e32 v14, vcc, v12, v14
	v_mad_u64_u32 v[17:18], s[4:5], s3, v18, v[17:18]
	v_mad_u64_u32 v[18:19], s[4:5], s2, v21, 0
	;; [unrolled: 60-line block ×4, first 2 shown]
	v_addc_co_u32_e32 v15, vcc, v13, v15, vcc
	global_store_dwordx2 v[14:15], v[73:74], off
	v_lshlrev_b64 v[14:15], 3, v[16:17]
	v_mov_b32_e32 v16, v19
	v_mad_u64_u32 v[16:17], s[4:5], s3, v21, v[16:17]
	v_add_co_u32_e32 v14, vcc, v12, v14
	v_addc_co_u32_e32 v15, vcc, v13, v15, vcc
	v_mov_b32_e32 v19, v16
	global_store_dwordx2 v[14:15], v[71:72], off
	v_lshlrev_b64 v[14:15], 3, v[18:19]
	v_add_u32_e32 v18, 0x55c, v20
	v_mad_u64_u32 v[16:17], s[4:5], s2, v18, 0
	v_add_u32_e32 v21, 0x6b3, v20
	v_add_co_u32_e32 v14, vcc, v12, v14
	v_mad_u64_u32 v[17:18], s[4:5], s3, v18, v[17:18]
	v_mad_u64_u32 v[18:19], s[4:5], s2, v21, 0
	v_addc_co_u32_e32 v15, vcc, v13, v15, vcc
	global_store_dwordx2 v[14:15], v[65:66], off
	v_lshlrev_b64 v[14:15], 3, v[16:17]
	v_mov_b32_e32 v16, v19
	v_mad_u64_u32 v[16:17], s[4:5], s3, v21, v[16:17]
	v_add_co_u32_e32 v14, vcc, v12, v14
	v_addc_co_u32_e32 v15, vcc, v13, v15, vcc
	v_mov_b32_e32 v19, v16
	global_store_dwordx2 v[14:15], v[63:64], off
	v_lshlrev_b64 v[14:15], 3, v[18:19]
	v_add_u32_e32 v18, 0x80a, v20
	v_mad_u64_u32 v[16:17], s[4:5], s2, v18, 0
	v_add_u32_e32 v19, 0x126, v106
	v_mul_hi_u32 v20, v19, s0
	v_mad_u64_u32 v[17:18], s[4:5], s3, v18, v[17:18]
	v_add_co_u32_e32 v14, vcc, v12, v14
	v_lshrrev_b32_e32 v18, 8, v20
	v_mul_u32_u24_e32 v20, 0x157, v18
	v_sub_u32_e32 v19, v19, v20
	v_mad_u32_u24 v20, v18, s1, v19
	v_mad_u64_u32 v[18:19], s[0:1], s2, v20, 0
	v_addc_co_u32_e32 v15, vcc, v13, v15, vcc
	global_store_dwordx2 v[14:15], v[60:61], off
	v_lshlrev_b64 v[14:15], 3, v[16:17]
	v_mov_b32_e32 v16, v19
	v_mad_u64_u32 v[16:17], s[0:1], s3, v20, v[16:17]
	v_add_co_u32_e32 v14, vcc, v12, v14
	v_addc_co_u32_e32 v15, vcc, v13, v15, vcc
	v_mov_b32_e32 v19, v16
	global_store_dwordx2 v[14:15], v[54:55], off
	v_lshlrev_b64 v[14:15], 3, v[18:19]
	v_add_u32_e32 v18, 0x157, v20
	v_mad_u64_u32 v[16:17], s[0:1], s2, v18, 0
	v_add_u32_e32 v21, 0x2ae, v20
	v_add_co_u32_e32 v14, vcc, v12, v14
	v_mad_u64_u32 v[17:18], s[0:1], s3, v18, v[17:18]
	v_mad_u64_u32 v[18:19], s[0:1], s2, v21, 0
	v_addc_co_u32_e32 v15, vcc, v13, v15, vcc
	global_store_dwordx2 v[14:15], v[6:7], off
	v_mov_b32_e32 v14, v19
	v_mad_u64_u32 v[14:15], s[0:1], s3, v21, v[14:15]
	v_lshlrev_b64 v[6:7], 3, v[16:17]
	v_add_u32_e32 v16, 0x405, v20
	v_mov_b32_e32 v19, v14
	v_mad_u64_u32 v[14:15], s[0:1], s2, v16, 0
	v_add_co_u32_e32 v6, vcc, v12, v6
	v_addc_co_u32_e32 v7, vcc, v13, v7, vcc
	global_store_dwordx2 v[6:7], v[50:51], off
	v_lshlrev_b64 v[6:7], 3, v[18:19]
	v_mad_u64_u32 v[15:16], s[0:1], s3, v16, v[15:16]
	v_add_u32_e32 v18, 0x55c, v20
	v_mad_u64_u32 v[16:17], s[0:1], s2, v18, 0
	v_add_co_u32_e32 v6, vcc, v12, v6
	v_addc_co_u32_e32 v7, vcc, v13, v7, vcc
	global_store_dwordx2 v[6:7], v[10:11], off
	v_mov_b32_e32 v10, v17
	v_mad_u64_u32 v[10:11], s[0:1], s3, v18, v[10:11]
	v_lshlrev_b64 v[6:7], 3, v[14:15]
	v_add_u32_e32 v14, 0x80a, v20
	v_add_co_u32_e32 v6, vcc, v12, v6
	v_addc_co_u32_e32 v7, vcc, v13, v7, vcc
	v_mov_b32_e32 v17, v10
	v_add_u32_e32 v10, 0x6b3, v20
	global_store_dwordx2 v[6:7], v[8:9], off
	v_mad_u64_u32 v[8:9], s[0:1], s2, v10, 0
	v_lshlrev_b64 v[6:7], 3, v[16:17]
	v_mad_u64_u32 v[9:10], s[0:1], s3, v10, v[9:10]
	v_mad_u64_u32 v[10:11], s[0:1], s2, v14, 0
	v_add_co_u32_e32 v6, vcc, v12, v6
	v_addc_co_u32_e32 v7, vcc, v13, v7, vcc
	global_store_dwordx2 v[6:7], v[4:5], off
	v_mov_b32_e32 v6, v11
	v_mad_u64_u32 v[6:7], s[0:1], s3, v14, v[6:7]
	v_lshlrev_b64 v[4:5], 3, v[8:9]
	v_add_co_u32_e32 v4, vcc, v12, v4
	v_addc_co_u32_e32 v5, vcc, v13, v5, vcc
	v_mov_b32_e32 v11, v6
	global_store_dwordx2 v[4:5], v[2:3], off
	v_lshlrev_b64 v[2:3], 3, v[10:11]
	v_add_co_u32_e32 v2, vcc, v12, v2
	v_addc_co_u32_e32 v3, vcc, v13, v3, vcc
	global_store_dwordx2 v[2:3], v[0:1], off
.LBB0_15:
	s_endpgm
	.section	.rodata,"a",@progbits
	.p2align	6, 0x0
	.amdhsa_kernel fft_rtc_back_len2401_factors_7_7_7_7_wgs_49_tpt_49_halfLds_sp_op_CI_CI_sbrr_dirReg
		.amdhsa_group_segment_fixed_size 0
		.amdhsa_private_segment_fixed_size 0
		.amdhsa_kernarg_size 104
		.amdhsa_user_sgpr_count 6
		.amdhsa_user_sgpr_private_segment_buffer 1
		.amdhsa_user_sgpr_dispatch_ptr 0
		.amdhsa_user_sgpr_queue_ptr 0
		.amdhsa_user_sgpr_kernarg_segment_ptr 1
		.amdhsa_user_sgpr_dispatch_id 0
		.amdhsa_user_sgpr_flat_scratch_init 0
		.amdhsa_user_sgpr_private_segment_size 0
		.amdhsa_uses_dynamic_stack 0
		.amdhsa_system_sgpr_private_segment_wavefront_offset 0
		.amdhsa_system_sgpr_workgroup_id_x 1
		.amdhsa_system_sgpr_workgroup_id_y 0
		.amdhsa_system_sgpr_workgroup_id_z 0
		.amdhsa_system_sgpr_workgroup_info 0
		.amdhsa_system_vgpr_workitem_id 0
		.amdhsa_next_free_vgpr 190
		.amdhsa_next_free_sgpr 32
		.amdhsa_reserve_vcc 1
		.amdhsa_reserve_flat_scratch 0
		.amdhsa_float_round_mode_32 0
		.amdhsa_float_round_mode_16_64 0
		.amdhsa_float_denorm_mode_32 3
		.amdhsa_float_denorm_mode_16_64 3
		.amdhsa_dx10_clamp 1
		.amdhsa_ieee_mode 1
		.amdhsa_fp16_overflow 0
		.amdhsa_exception_fp_ieee_invalid_op 0
		.amdhsa_exception_fp_denorm_src 0
		.amdhsa_exception_fp_ieee_div_zero 0
		.amdhsa_exception_fp_ieee_overflow 0
		.amdhsa_exception_fp_ieee_underflow 0
		.amdhsa_exception_fp_ieee_inexact 0
		.amdhsa_exception_int_div_zero 0
	.end_amdhsa_kernel
	.text
.Lfunc_end0:
	.size	fft_rtc_back_len2401_factors_7_7_7_7_wgs_49_tpt_49_halfLds_sp_op_CI_CI_sbrr_dirReg, .Lfunc_end0-fft_rtc_back_len2401_factors_7_7_7_7_wgs_49_tpt_49_halfLds_sp_op_CI_CI_sbrr_dirReg
                                        ; -- End function
	.section	.AMDGPU.csdata,"",@progbits
; Kernel info:
; codeLenInByte = 27476
; NumSgprs: 36
; NumVgprs: 190
; ScratchSize: 0
; MemoryBound: 0
; FloatMode: 240
; IeeeMode: 1
; LDSByteSize: 0 bytes/workgroup (compile time only)
; SGPRBlocks: 4
; VGPRBlocks: 47
; NumSGPRsForWavesPerEU: 36
; NumVGPRsForWavesPerEU: 190
; Occupancy: 1
; WaveLimiterHint : 1
; COMPUTE_PGM_RSRC2:SCRATCH_EN: 0
; COMPUTE_PGM_RSRC2:USER_SGPR: 6
; COMPUTE_PGM_RSRC2:TRAP_HANDLER: 0
; COMPUTE_PGM_RSRC2:TGID_X_EN: 1
; COMPUTE_PGM_RSRC2:TGID_Y_EN: 0
; COMPUTE_PGM_RSRC2:TGID_Z_EN: 0
; COMPUTE_PGM_RSRC2:TIDIG_COMP_CNT: 0
	.type	__hip_cuid_678c7bd06a428ed,@object ; @__hip_cuid_678c7bd06a428ed
	.section	.bss,"aw",@nobits
	.globl	__hip_cuid_678c7bd06a428ed
__hip_cuid_678c7bd06a428ed:
	.byte	0                               ; 0x0
	.size	__hip_cuid_678c7bd06a428ed, 1

	.ident	"AMD clang version 19.0.0git (https://github.com/RadeonOpenCompute/llvm-project roc-6.4.0 25133 c7fe45cf4b819c5991fe208aaa96edf142730f1d)"
	.section	".note.GNU-stack","",@progbits
	.addrsig
	.addrsig_sym __hip_cuid_678c7bd06a428ed
	.amdgpu_metadata
---
amdhsa.kernels:
  - .args:
      - .actual_access:  read_only
        .address_space:  global
        .offset:         0
        .size:           8
        .value_kind:     global_buffer
      - .offset:         8
        .size:           8
        .value_kind:     by_value
      - .actual_access:  read_only
        .address_space:  global
        .offset:         16
        .size:           8
        .value_kind:     global_buffer
      - .actual_access:  read_only
        .address_space:  global
        .offset:         24
        .size:           8
        .value_kind:     global_buffer
      - .actual_access:  read_only
        .address_space:  global
        .offset:         32
        .size:           8
        .value_kind:     global_buffer
      - .offset:         40
        .size:           8
        .value_kind:     by_value
      - .actual_access:  read_only
        .address_space:  global
        .offset:         48
        .size:           8
        .value_kind:     global_buffer
      - .actual_access:  read_only
        .address_space:  global
        .offset:         56
        .size:           8
        .value_kind:     global_buffer
      - .offset:         64
        .size:           4
        .value_kind:     by_value
      - .actual_access:  read_only
        .address_space:  global
        .offset:         72
        .size:           8
        .value_kind:     global_buffer
      - .actual_access:  read_only
        .address_space:  global
        .offset:         80
        .size:           8
        .value_kind:     global_buffer
      - .actual_access:  read_only
        .address_space:  global
        .offset:         88
        .size:           8
        .value_kind:     global_buffer
      - .actual_access:  write_only
        .address_space:  global
        .offset:         96
        .size:           8
        .value_kind:     global_buffer
    .group_segment_fixed_size: 0
    .kernarg_segment_align: 8
    .kernarg_segment_size: 104
    .language:       OpenCL C
    .language_version:
      - 2
      - 0
    .max_flat_workgroup_size: 49
    .name:           fft_rtc_back_len2401_factors_7_7_7_7_wgs_49_tpt_49_halfLds_sp_op_CI_CI_sbrr_dirReg
    .private_segment_fixed_size: 0
    .sgpr_count:     36
    .sgpr_spill_count: 0
    .symbol:         fft_rtc_back_len2401_factors_7_7_7_7_wgs_49_tpt_49_halfLds_sp_op_CI_CI_sbrr_dirReg.kd
    .uniform_work_group_size: 1
    .uses_dynamic_stack: false
    .vgpr_count:     190
    .vgpr_spill_count: 0
    .wavefront_size: 64
amdhsa.target:   amdgcn-amd-amdhsa--gfx906
amdhsa.version:
  - 1
  - 2
...

	.end_amdgpu_metadata
